;; amdgpu-corpus repo=ROCm/rocFFT kind=compiled arch=gfx906 opt=O3
	.text
	.amdgcn_target "amdgcn-amd-amdhsa--gfx906"
	.amdhsa_code_object_version 6
	.protected	bluestein_single_fwd_len1400_dim1_dp_op_CI_CI ; -- Begin function bluestein_single_fwd_len1400_dim1_dp_op_CI_CI
	.globl	bluestein_single_fwd_len1400_dim1_dp_op_CI_CI
	.p2align	8
	.type	bluestein_single_fwd_len1400_dim1_dp_op_CI_CI,@function
bluestein_single_fwd_len1400_dim1_dp_op_CI_CI: ; @bluestein_single_fwd_len1400_dim1_dp_op_CI_CI
; %bb.0:
	s_load_dwordx4 s[8:11], s[4:5], 0x28
	s_mov_b64 s[38:39], s[2:3]
	v_mul_u32_u24_e32 v1, 0x493, v0
	s_mov_b64 s[36:37], s[0:1]
	v_add_u32_sdwa v4, s6, v1 dst_sel:DWORD dst_unused:UNUSED_PAD src0_sel:DWORD src1_sel:WORD_1
	v_mov_b32_e32 v5, 0
	s_add_u32 s36, s36, s7
	s_waitcnt lgkmcnt(0)
	v_cmp_gt_u64_e32 vcc, s[8:9], v[4:5]
	s_addc_u32 s37, s37, 0
	s_and_saveexec_b64 s[0:1], vcc
	s_cbranch_execz .LBB0_39
; %bb.1:
	s_load_dwordx4 s[12:15], s[4:5], 0x18
	v_mov_b32_e32 v2, 56
	v_mul_lo_u16_sdwa v1, v1, v2 dst_sel:DWORD dst_unused:UNUSED_PAD src0_sel:WORD_1 src1_sel:DWORD
	v_sub_u16_e32 v159, v0, v1
	v_mov_b32_e32 v5, v4
	s_waitcnt lgkmcnt(0)
	s_load_dwordx4 s[0:3], s[12:13], 0x0
	buffer_store_dword v5, off, s[36:39], 0 offset:44 ; 4-byte Folded Spill
	s_nop 0
	buffer_store_dword v6, off, s[36:39], 0 offset:48 ; 4-byte Folded Spill
	s_load_dwordx2 s[12:13], s[4:5], 0x0
	v_lshlrev_b32_e32 v184, 4, v159
	v_or_b32_e32 v76, 0x1c0, v159
	s_waitcnt lgkmcnt(0)
	v_mad_u64_u32 v[0:1], s[6:7], s2, v4, 0
	v_mad_u64_u32 v[2:3], s[6:7], s0, v159, 0
	s_movk_i32 s6, 0x2000
	s_mul_hi_u32 s7, s0, 0xfffffd7c
	v_mad_u64_u32 v[4:5], s[2:3], s3, v4, v[1:2]
	s_sub_i32 s7, s7, s0
	v_mad_u64_u32 v[5:6], s[2:3], s1, v159, v[3:4]
	v_mov_b32_e32 v1, v4
	v_lshlrev_b64 v[0:1], 4, v[0:1]
	v_mov_b32_e32 v6, s11
	v_mov_b32_e32 v3, v5
	v_add_co_u32_e32 v20, vcc, s10, v0
	v_addc_co_u32_e32 v21, vcc, v6, v1, vcc
	v_lshlrev_b64 v[0:1], 4, v[2:3]
	s_mul_i32 s2, s1, 0x2bc
	v_add_co_u32_e32 v0, vcc, v20, v0
	v_addc_co_u32_e32 v1, vcc, v21, v1, vcc
	s_mul_hi_u32 s3, s0, 0x2bc
	v_mov_b32_e32 v2, s13
	v_add_co_u32_e32 v116, vcc, s12, v184
	s_add_i32 s3, s3, s2
	s_mul_i32 s2, s0, 0x2bc
	v_addc_co_u32_e32 v117, vcc, 0, v2, vcc
	s_lshl_b64 s[2:3], s[2:3], 4
	v_mov_b32_e32 v19, s3
	v_add_co_u32_e32 v2, vcc, s2, v0
	v_addc_co_u32_e32 v3, vcc, v1, v19, vcc
	v_add_co_u32_e32 v16, vcc, s6, v116
	s_mul_i32 s6, s1, 0xfffffd7c
	s_add_i32 s7, s7, s6
	s_mul_i32 s6, s0, 0xfffffd7c
	v_addc_co_u32_e32 v17, vcc, 0, v117, vcc
	s_lshl_b64 s[16:17], s[6:7], 4
	global_load_dwordx4 v[22:25], v[0:1], off
	global_load_dwordx4 v[26:29], v[2:3], off
	v_mov_b32_e32 v18, s17
	v_add_co_u32_e32 v0, vcc, s16, v2
	v_addc_co_u32_e32 v1, vcc, v3, v18, vcc
	global_load_dwordx4 v[70:73], v184, s[12:13]
	global_load_dwordx4 v[62:65], v184, s[12:13] offset:896
	v_add_co_u32_e32 v2, vcc, s2, v0
	v_addc_co_u32_e32 v3, vcc, v1, v19, vcc
	global_load_dwordx4 v[30:33], v[0:1], off
	global_load_dwordx4 v[34:37], v[2:3], off
	global_load_dwordx4 v[66:69], v[16:17], off offset:3008
	global_load_dwordx4 v[58:61], v[16:17], off offset:3904
	v_add_co_u32_e32 v4, vcc, s16, v2
	v_addc_co_u32_e32 v5, vcc, v3, v18, vcc
	v_add_co_u32_e32 v8, vcc, s2, v4
	v_addc_co_u32_e32 v9, vcc, v5, v19, vcc
	s_movk_i32 s6, 0x3000
	v_add_co_u32_e32 v54, vcc, s6, v116
	v_addc_co_u32_e32 v55, vcc, 0, v117, vcc
	v_add_co_u32_e32 v12, vcc, s16, v8
	v_addc_co_u32_e32 v13, vcc, v9, v18, vcc
	v_add_co_u32_e32 v38, vcc, s2, v12
	global_load_dwordx4 v[0:3], v[4:5], off
	global_load_dwordx4 v[126:129], v[54:55], off offset:704
	v_addc_co_u32_e32 v39, vcc, v13, v19, vcc
	global_load_dwordx4 v[4:7], v[8:9], off
	s_nop 0
	global_load_dwordx4 v[8:11], v[12:13], off
	global_load_dwordx4 v[180:183], v184, s[12:13] offset:1792
	global_load_dwordx4 v[150:153], v184, s[12:13] offset:2688
	global_load_dwordx4 v[138:141], v[54:55], off offset:1600
	s_nop 0
	global_load_dwordx4 v[12:15], v[38:39], off
	s_load_dwordx2 s[6:7], s[4:5], 0x38
	s_load_dwordx4 s[8:11], s[14:15], 0x0
	s_movk_i32 s14, 0x1000
	s_waitcnt vmcnt(13)
	v_mul_f64 v[40:41], v[24:25], v[72:73]
	v_mul_f64 v[42:43], v[22:23], v[72:73]
	s_waitcnt vmcnt(11)
	v_mul_f64 v[48:49], v[32:33], v[64:65]
	v_mul_f64 v[50:51], v[30:31], v[64:65]
	s_waitcnt vmcnt(9)
	v_mul_f64 v[44:45], v[28:29], v[68:69]
	s_waitcnt vmcnt(8)
	v_mul_f64 v[52:53], v[36:37], v[60:61]
	v_mul_f64 v[46:47], v[26:27], v[68:69]
	v_fma_f64 v[22:23], v[22:23], v[70:71], v[40:41]
	buffer_store_dword v70, off, s[36:39], 0 offset:396 ; 4-byte Folded Spill
	s_nop 0
	buffer_store_dword v71, off, s[36:39], 0 offset:400 ; 4-byte Folded Spill
	buffer_store_dword v72, off, s[36:39], 0 offset:404 ; 4-byte Folded Spill
	;; [unrolled: 1-line block ×3, first 2 shown]
	v_mul_f64 v[56:57], v[34:35], v[60:61]
	v_fma_f64 v[30:31], v[30:31], v[62:63], v[48:49]
	v_fma_f64 v[26:27], v[26:27], v[66:67], v[44:45]
	buffer_store_dword v66, off, s[36:39], 0 offset:380 ; 4-byte Folded Spill
	s_nop 0
	buffer_store_dword v67, off, s[36:39], 0 offset:384 ; 4-byte Folded Spill
	buffer_store_dword v68, off, s[36:39], 0 offset:388 ; 4-byte Folded Spill
	;; [unrolled: 1-line block ×4, first 2 shown]
	s_nop 0
	buffer_store_dword v63, off, s[36:39], 0 offset:272 ; 4-byte Folded Spill
	buffer_store_dword v64, off, s[36:39], 0 offset:276 ; 4-byte Folded Spill
	;; [unrolled: 1-line block ×3, first 2 shown]
	v_fma_f64 v[34:35], v[34:35], v[58:59], v[52:53]
	buffer_store_dword v58, off, s[36:39], 0 offset:220 ; 4-byte Folded Spill
	s_nop 0
	buffer_store_dword v59, off, s[36:39], 0 offset:224 ; 4-byte Folded Spill
	buffer_store_dword v60, off, s[36:39], 0 offset:228 ; 4-byte Folded Spill
	buffer_store_dword v61, off, s[36:39], 0 offset:232 ; 4-byte Folded Spill
	s_waitcnt vmcnt(19)
	v_mul_f64 v[102:103], v[2:3], v[182:183]
	v_mul_f64 v[106:107], v[6:7], v[128:129]
	s_waitcnt vmcnt(18)
	v_mul_f64 v[110:111], v[10:11], v[152:153]
	s_waitcnt vmcnt(16)
	v_mul_f64 v[114:115], v[14:15], v[140:141]
	v_mul_f64 v[104:105], v[0:1], v[182:183]
	;; [unrolled: 1-line block ×4, first 2 shown]
	v_fma_f64 v[0:1], v[0:1], v[180:181], v[102:103]
	v_fma_f64 v[4:5], v[4:5], v[126:127], v[106:107]
	;; [unrolled: 1-line block ×3, first 2 shown]
	v_fma_f64 v[24:25], v[24:25], v[70:71], -v[42:43]
	v_add_co_u32_e32 v42, vcc, s16, v38
	v_addc_co_u32_e32 v43, vcc, v39, v18, vcc
	v_fma_f64 v[28:29], v[28:29], v[66:67], -v[46:47]
	v_add_co_u32_e32 v46, vcc, s2, v42
	v_addc_co_u32_e32 v47, vcc, v43, v19, vcc
	;; [unrolled: 3-line block ×3, first 2 shown]
	v_add_co_u32_e32 v82, vcc, s14, v116
	v_addc_co_u32_e32 v83, vcc, 0, v117, vcc
	v_fma_f64 v[36:37], v[36:37], v[58:59], -v[56:57]
	v_add_co_u32_e32 v56, vcc, s2, v50
	v_addc_co_u32_e32 v57, vcc, v51, v19, vcc
	v_add_co_u32_e32 v58, vcc, s16, v56
	v_addc_co_u32_e32 v59, vcc, v57, v18, vcc
	;; [unrolled: 2-line block ×3, first 2 shown]
	s_movk_i32 s14, 0x4000
	v_add_co_u32_e32 v94, vcc, s14, v116
	v_mad_u64_u32 v[70:71], s[14:15], s0, v76, 0
	v_addc_co_u32_e32 v95, vcc, 0, v117, vcc
	v_add_co_u32_e32 v66, vcc, s16, v62
	v_addc_co_u32_e32 v67, vcc, v63, v18, vcc
	global_load_dwordx4 v[38:41], v[42:43], off
	global_load_dwordx4 v[134:137], v184, s[12:13] offset:3584
	v_add_co_u32_e32 v74, vcc, s2, v66
	global_load_dwordx4 v[42:45], v[46:47], off
	v_addc_co_u32_e32 v75, vcc, v67, v19, vcc
	global_load_dwordx4 v[46:49], v[50:51], off
	s_nop 0
	global_load_dwordx4 v[50:53], v[56:57], off
	global_load_dwordx4 v[189:192], v[54:55], off offset:2496
	global_load_dwordx4 v[168:171], v[54:55], off offset:3392
	s_nop 0
	global_load_dwordx4 v[54:57], v[58:59], off
	global_load_dwordx4 v[193:196], v[82:83], off offset:384
	global_load_dwordx4 v[130:133], v[82:83], off offset:1280
	s_nop 0
	global_load_dwordx4 v[58:61], v[62:63], off
	s_nop 0
	global_load_dwordx4 v[62:65], v[66:67], off
	global_load_dwordx4 v[160:163], v[82:83], off offset:2176
	v_mov_b32_e32 v66, v71
	v_mad_u64_u32 v[71:72], s[14:15], s1, v76, v[66:67]
	global_load_dwordx4 v[66:69], v[74:75], off
	global_load_dwordx4 v[197:200], v[94:95], off offset:192
	global_load_dwordx4 v[185:188], v[94:95], off offset:1088
	v_lshlrev_b64 v[70:71], 4, v[70:71]
	buffer_store_dword v76, off, s[36:39], 0 offset:52 ; 4-byte Folded Spill
	v_add_co_u32_e32 v20, vcc, v20, v70
	v_addc_co_u32_e32 v21, vcc, v21, v71, vcc
	global_load_dwordx4 v[70:73], v[20:21], off
	v_mov_b32_e32 v20, 0x380
	v_mad_u64_u32 v[20:21], s[14:15], s0, v20, v[74:75]
	s_mul_i32 s0, s1, 0x380
	v_lshlrev_b32_e32 v74, 4, v76
	v_add_u32_e32 v21, s0, v21
	buffer_store_dword v74, off, s[36:39], 0 offset:524 ; 4-byte Folded Spill
	global_load_dwordx4 v[164:167], v74, s[12:13]
	s_movk_i32 s0, 0x5000
	global_load_dwordx4 v[74:77], v[20:21], off
	v_add_co_u32_e32 v20, vcc, s16, v20
	v_addc_co_u32_e32 v21, vcc, v21, v18, vcc
	global_load_dwordx4 v[78:81], v[20:21], off
	global_load_dwordx4 v[146:149], v[82:83], off offset:3968
	v_add_co_u32_e32 v20, vcc, s2, v20
	v_addc_co_u32_e32 v21, vcc, v21, v19, vcc
	global_load_dwordx4 v[82:85], v[20:21], off
	global_load_dwordx4 v[176:179], v[94:95], off offset:1984
	global_load_dwordx4 v[142:145], v[94:95], off offset:2880
	v_add_co_u32_e32 v20, vcc, s16, v20
	v_addc_co_u32_e32 v21, vcc, v21, v18, vcc
	global_load_dwordx4 v[86:89], v[20:21], off
	v_add_co_u32_e32 v20, vcc, s2, v20
	v_addc_co_u32_e32 v21, vcc, v21, v19, vcc
	global_load_dwordx4 v[90:93], v[20:21], off
	global_load_dwordx4 v[118:121], v[94:95], off offset:3776
	v_add_co_u32_e32 v20, vcc, s16, v20
	v_addc_co_u32_e32 v21, vcc, v21, v18, vcc
	v_add_co_u32_e32 v18, vcc, s2, v20
	v_addc_co_u32_e32 v19, vcc, v21, v19, vcc
	global_load_dwordx4 v[94:97], v[20:21], off
	global_load_dwordx4 v[172:175], v[16:17], off offset:768
	global_load_dwordx4 v[122:125], v[16:17], off offset:1664
	v_add_co_u32_e32 v16, vcc, s0, v116
	v_addc_co_u32_e32 v17, vcc, 0, v117, vcc
	global_load_dwordx4 v[98:101], v[18:19], off
	global_load_dwordx4 v[154:157], v[16:17], off offset:576
	v_mul_f64 v[20:21], v[12:13], v[140:141]
	buffer_store_dword v116, off, s[36:39], 0 offset:36 ; 4-byte Folded Spill
	buffer_store_dword v117, off, s[36:39], 0 offset:40 ; 4-byte Folded Spill
	buffer_store_dword v180, off, s[36:39], 0 offset:332 ; 4-byte Folded Spill
	s_nop 0
	buffer_store_dword v181, off, s[36:39], 0 offset:336 ; 4-byte Folded Spill
	buffer_store_dword v182, off, s[36:39], 0 offset:340 ; 4-byte Folded Spill
	buffer_store_dword v183, off, s[36:39], 0 offset:344 ; 4-byte Folded Spill
	buffer_store_dword v126, off, s[36:39], 0 offset:92 ; 4-byte Folded Spill
	s_nop 0
	buffer_store_dword v127, off, s[36:39], 0 offset:96 ; 4-byte Folded Spill
	;; [unrolled: 5-line block ×3, first 2 shown]
	buffer_store_dword v152, off, s[36:39], 0 offset:196 ; 4-byte Folded Spill
	buffer_store_dword v153, off, s[36:39], 0 offset:200 ; 4-byte Folded Spill
	v_fma_f64 v[12:13], v[12:13], v[138:139], v[114:115]
	buffer_store_dword v138, off, s[36:39], 0 offset:140 ; 4-byte Folded Spill
	s_nop 0
	buffer_store_dword v139, off, s[36:39], 0 offset:144 ; 4-byte Folded Spill
	buffer_store_dword v140, off, s[36:39], 0 offset:148 ; 4-byte Folded Spill
	;; [unrolled: 1-line block ×3, first 2 shown]
	v_cmp_gt_u16_e64 s[0:1], 28, v159
	v_fma_f64 v[2:3], v[2:3], v[180:181], -v[104:105]
	v_fma_f64 v[6:7], v[6:7], v[126:127], -v[108:109]
	;; [unrolled: 1-line block ×4, first 2 shown]
	ds_write_b128 v184, v[22:25]
	ds_write_b128 v184, v[26:29] offset:11200
	ds_write_b128 v184, v[30:33] offset:896
	;; [unrolled: 1-line block ×7, first 2 shown]
	s_waitcnt vmcnt(50)
	v_mul_f64 v[0:1], v[40:41], v[136:137]
	s_waitcnt vmcnt(46)
	v_mul_f64 v[4:5], v[44:45], v[191:192]
	s_waitcnt vmcnt(43)
	v_mul_f64 v[8:9], v[48:49], v[195:196]
	v_mul_f64 v[12:13], v[52:53], v[170:171]
	s_waitcnt vmcnt(42)
	v_mul_f64 v[20:21], v[56:57], v[132:133]
	s_waitcnt vmcnt(37)
	v_mul_f64 v[24:25], v[60:61], v[199:200]
	v_mul_f64 v[28:29], v[64:65], v[162:163]
	s_waitcnt vmcnt(36)
	v_mul_f64 v[32:33], v[68:69], v[187:188]
	v_mul_f64 v[2:3], v[38:39], v[136:137]
	v_fma_f64 v[0:1], v[38:39], v[134:135], v[0:1]
	buffer_store_dword v134, off, s[36:39], 0 offset:124 ; 4-byte Folded Spill
	s_nop 0
	buffer_store_dword v135, off, s[36:39], 0 offset:128 ; 4-byte Folded Spill
	buffer_store_dword v136, off, s[36:39], 0 offset:132 ; 4-byte Folded Spill
	buffer_store_dword v137, off, s[36:39], 0 offset:136 ; 4-byte Folded Spill
	v_mul_f64 v[6:7], v[42:43], v[191:192]
	v_fma_f64 v[4:5], v[42:43], v[189:190], v[4:5]
	buffer_store_dword v189, off, s[36:39], 0 offset:364 ; 4-byte Folded Spill
	s_nop 0
	buffer_store_dword v190, off, s[36:39], 0 offset:368 ; 4-byte Folded Spill
	buffer_store_dword v191, off, s[36:39], 0 offset:372 ; 4-byte Folded Spill
	buffer_store_dword v192, off, s[36:39], 0 offset:376 ; 4-byte Folded Spill
	;; [unrolled: 7-line block ×8, first 2 shown]
	v_fma_f64 v[2:3], v[40:41], v[134:135], -v[2:3]
	v_fma_f64 v[6:7], v[44:45], v[189:190], -v[6:7]
	v_fma_f64 v[10:11], v[48:49], v[193:194], -v[10:11]
	v_fma_f64 v[14:15], v[52:53], v[168:169], -v[14:15]
	v_fma_f64 v[22:23], v[56:57], v[130:131], -v[22:23]
	v_fma_f64 v[26:27], v[60:61], v[197:198], -v[26:27]
	v_fma_f64 v[30:31], v[64:65], v[160:161], -v[30:31]
	v_fma_f64 v[34:35], v[68:69], v[185:186], -v[34:35]
	ds_write_b128 v184, v[0:3] offset:3584
	ds_write_b128 v184, v[4:7] offset:14784
	ds_write_b128 v184, v[8:11] offset:4480
	ds_write_b128 v184, v[12:15] offset:15680
	ds_write_b128 v184, v[20:23] offset:5376
	ds_write_b128 v184, v[24:27] offset:16576
	ds_write_b128 v184, v[28:31] offset:6272
	ds_write_b128 v184, v[32:35] offset:17472
	s_waitcnt vmcnt(62)
	v_mul_f64 v[0:1], v[72:73], v[166:167]
	s_waitcnt vmcnt(59)
	v_mul_f64 v[4:5], v[76:77], v[178:179]
	v_mul_f64 v[8:9], v[80:81], v[148:149]
	s_waitcnt vmcnt(58)
	v_mul_f64 v[12:13], v[84:85], v[144:145]
	s_waitcnt vmcnt(53)
	v_mul_f64 v[20:21], v[88:89], v[174:175]
	v_mul_f64 v[24:25], v[92:93], v[120:121]
	;; [unrolled: 5-line block ×3, first 2 shown]
	v_fma_f64 v[0:1], v[70:71], v[164:165], v[0:1]
	buffer_store_dword v164, off, s[36:39], 0 offset:252 ; 4-byte Folded Spill
	s_nop 0
	buffer_store_dword v165, off, s[36:39], 0 offset:256 ; 4-byte Folded Spill
	buffer_store_dword v166, off, s[36:39], 0 offset:260 ; 4-byte Folded Spill
	buffer_store_dword v167, off, s[36:39], 0 offset:264 ; 4-byte Folded Spill
	v_mul_f64 v[6:7], v[74:75], v[178:179]
	v_fma_f64 v[4:5], v[74:75], v[176:177], v[4:5]
	buffer_store_dword v176, off, s[36:39], 0 offset:316 ; 4-byte Folded Spill
	s_nop 0
	buffer_store_dword v177, off, s[36:39], 0 offset:320 ; 4-byte Folded Spill
	buffer_store_dword v178, off, s[36:39], 0 offset:324 ; 4-byte Folded Spill
	buffer_store_dword v179, off, s[36:39], 0 offset:328 ; 4-byte Folded Spill
	v_mul_f64 v[10:11], v[78:79], v[148:149]
	;; [unrolled: 7-line block ×7, first 2 shown]
	v_fma_f64 v[32:33], v[98:99], v[154:155], v[32:33]
	buffer_store_dword v154, off, s[36:39], 0 offset:204 ; 4-byte Folded Spill
	s_nop 0
	buffer_store_dword v155, off, s[36:39], 0 offset:208 ; 4-byte Folded Spill
	buffer_store_dword v156, off, s[36:39], 0 offset:212 ; 4-byte Folded Spill
	;; [unrolled: 1-line block ×3, first 2 shown]
	v_fma_f64 v[2:3], v[72:73], v[164:165], -v[2:3]
	v_fma_f64 v[6:7], v[76:77], v[176:177], -v[6:7]
	;; [unrolled: 1-line block ×8, first 2 shown]
	ds_write_b128 v184, v[0:3] offset:7168
	ds_write_b128 v184, v[4:7] offset:18368
	;; [unrolled: 1-line block ×8, first 2 shown]
	s_and_saveexec_b64 s[14:15], s[0:1]
	s_cbranch_execz .LBB0_3
; %bb.2:
	buffer_load_dword v4, off, s[36:39], 0 offset:36 ; 4-byte Folded Reload
	buffer_load_dword v5, off, s[36:39], 0 offset:40 ; 4-byte Folded Reload
	v_mov_b32_e32 v0, s17
	v_add_co_u32_e32 v8, vcc, s16, v18
	v_addc_co_u32_e32 v9, vcc, v19, v0, vcc
	global_load_dwordx4 v[0:3], v[8:9], off
	v_mov_b32_e32 v10, s3
	s_waitcnt vmcnt(2)
	v_add_co_u32_e32 v4, vcc, 0x2000, v4
	s_waitcnt vmcnt(1)
	v_addc_co_u32_e32 v5, vcc, 0, v5, vcc
	global_load_dwordx4 v[4:7], v[4:5], off offset:2560
	v_add_co_u32_e32 v18, vcc, s2, v8
	v_addc_co_u32_e32 v19, vcc, v9, v10, vcc
	global_load_dwordx4 v[8:11], v[16:17], off offset:1472
	global_load_dwordx4 v[12:15], v[18:19], off
	s_waitcnt vmcnt(2)
	v_mul_f64 v[16:17], v[2:3], v[6:7]
	v_mul_f64 v[6:7], v[0:1], v[6:7]
	s_waitcnt vmcnt(0)
	v_mul_f64 v[18:19], v[14:15], v[10:11]
	v_mul_f64 v[10:11], v[12:13], v[10:11]
	v_fma_f64 v[0:1], v[0:1], v[4:5], v[16:17]
	v_fma_f64 v[2:3], v[2:3], v[4:5], -v[6:7]
	v_fma_f64 v[4:5], v[12:13], v[8:9], v[18:19]
	v_fma_f64 v[6:7], v[14:15], v[8:9], -v[10:11]
	ds_write_b128 v184, v[0:3] offset:10752
	ds_write_b128 v184, v[4:7] offset:21952
.LBB0_3:
	s_or_b64 exec, exec, s[14:15]
	s_waitcnt lgkmcnt(0)
	; wave barrier
	s_waitcnt lgkmcnt(0)
	ds_read_b128 v[96:99], v184
	ds_read_b128 v[68:71], v184 offset:896
	ds_read_b128 v[100:103], v184 offset:11200
	;; [unrolled: 1-line block ×23, first 2 shown]
                                        ; implicit-def: $vgpr16_vgpr17
                                        ; implicit-def: $vgpr20_vgpr21
	s_and_saveexec_b64 s[2:3], s[0:1]
	s_cbranch_execz .LBB0_5
; %bb.4:
	ds_read_b128 v[16:19], v184 offset:10752
	ds_read_b128 v[20:23], v184 offset:21952
.LBB0_5:
	s_or_b64 exec, exec, s[2:3]
	s_waitcnt lgkmcnt(14)
	v_add_f64 v[100:101], v[96:97], -v[100:101]
	v_add_f64 v[102:103], v[98:99], -v[102:103]
	;; [unrolled: 1-line block ×8, first 2 shown]
	s_waitcnt lgkmcnt(13)
	v_add_f64 v[80:81], v[64:65], -v[80:81]
	v_add_f64 v[82:83], v[66:67], -v[82:83]
	s_waitcnt lgkmcnt(12)
	v_add_f64 v[60:61], v[36:37], -v[60:61]
	v_add_f64 v[62:63], v[38:39], -v[62:63]
	;; [unrolled: 3-line block ×6, first 2 shown]
	v_add_f64 v[28:29], v[4:5], -v[28:29]
	v_add_f64 v[30:31], v[6:7], -v[30:31]
	s_waitcnt lgkmcnt(0)
	v_add_f64 v[104:105], v[12:13], -v[0:1]
	v_add_f64 v[106:107], v[14:15], -v[2:3]
	;; [unrolled: 1-line block ×4, first 2 shown]
	v_fma_f64 v[96:97], v[96:97], 2.0, -v[100:101]
	v_fma_f64 v[98:99], v[98:99], 2.0, -v[102:103]
	;; [unrolled: 1-line block ×14, first 2 shown]
	s_movk_i32 s2, 0x70
	v_add_co_u32_e32 v144, vcc, s2, v159
	s_movk_i32 s2, 0xa8
	v_fma_f64 v[44:45], v[44:45], 2.0, -v[52:53]
	v_fma_f64 v[46:47], v[46:47], 2.0, -v[54:55]
	;; [unrolled: 1-line block ×4, first 2 shown]
	v_add_co_u32_e32 v146, vcc, s2, v159
	s_movk_i32 s2, 0xe0
	v_lshlrev_b32_e32 v122, 1, v159
	v_fma_f64 v[8:9], v[8:9], 2.0, -v[24:25]
	v_fma_f64 v[10:11], v[10:11], 2.0, -v[26:27]
	v_add_co_u32_e32 v145, vcc, 56, v159
	v_add_co_u32_e32 v160, vcc, s2, v159
	v_fma_f64 v[20:21], v[4:5], 2.0, -v[28:29]
	v_fma_f64 v[22:23], v[6:7], 2.0, -v[30:31]
	v_add_u32_e32 v114, 0x230, v122
	v_fma_f64 v[12:13], v[12:13], 2.0, -v[104:105]
	v_fma_f64 v[14:15], v[14:15], 2.0, -v[106:107]
	;; [unrolled: 1-line block ×4, first 2 shown]
	v_lshlrev_b32_e32 v190, 5, v159
	v_lshlrev_b32_e32 v191, 5, v145
	v_lshlrev_b32_e32 v192, 5, v144
	v_lshlrev_b32_e32 v195, 5, v146
	v_lshlrev_b32_e32 v16, 5, v160
	v_lshlrev_b32_e32 v17, 4, v114
	v_add_u32_e32 v117, 0x2a0, v122
	s_waitcnt lgkmcnt(0)
	; wave barrier
	ds_write_b128 v190, v[96:99]
	ds_write_b128 v190, v[100:103] offset:16
	ds_write_b128 v191, v[68:71]
	ds_write_b128 v191, v[92:95] offset:16
	ds_write_b128 v192, v[72:75]
	ds_write_b128 v192, v[88:91] offset:16
	ds_write_b128 v195, v[76:79]
	ds_write_b128 v195, v[84:87] offset:16
	ds_write_b128 v16, v[64:67]
	buffer_store_dword v16, off, s[36:39], 0 offset:444 ; 4-byte Folded Spill
	ds_write_b128 v16, v[80:83] offset:16
	v_lshlrev_b32_e32 v16, 4, v122
	buffer_store_dword v17, off, s[36:39], 0 offset:448 ; 4-byte Folded Spill
	ds_write_b128 v17, v[60:63] offset:16
	v_lshlrev_b32_e32 v17, 4, v117
	v_add_u32_e32 v118, 0x310, v122
	ds_write_b128 v16, v[36:39] offset:8960
	buffer_store_dword v17, off, s[36:39], 0 offset:452 ; 4-byte Folded Spill
	ds_write_b128 v17, v[56:59] offset:16
	v_lshlrev_b32_e32 v17, 4, v118
	s_load_dwordx2 s[4:5], s[4:5], 0x8
	ds_write_b128 v16, v[40:43] offset:10752
	buffer_store_dword v17, off, s[36:39], 0 offset:456 ; 4-byte Folded Spill
	ds_write_b128 v17, v[52:55] offset:16
	v_or_b32_e32 v17, 0x1c0, v159
	v_lshlrev_b32_e32 v119, 1, v17
	v_lshlrev_b32_e32 v17, 5, v17
	v_add_u32_e32 v115, 0x3f0, v122
	s_movk_i32 s2, 0x2a0
	ds_write_b128 v16, v[44:47] offset:12544
	ds_write_b128 v17, v[32:35]
	buffer_store_dword v17, off, s[36:39], 0 offset:460 ; 4-byte Folded Spill
	ds_write_b128 v17, v[48:51] offset:16
	v_lshlrev_b32_e32 v17, 4, v115
	v_add_u32_e32 v113, 0x460, v122
	v_add_u32_e32 v112, 0x4d0, v122
	v_add_co_u32_e32 v108, vcc, s2, v159
	buffer_store_dword v17, off, s[36:39], 0 offset:464 ; 4-byte Folded Spill
	ds_write_b128 v17, v[28:31] offset:16
	v_lshlrev_b32_e32 v17, 4, v113
	ds_write_b128 v16, v[8:11] offset:17920
	v_lshlrev_b32_e32 v8, 4, v112
	v_lshlrev_b32_e32 v123, 1, v145
	;; [unrolled: 1-line block ×5, first 2 shown]
	ds_write_b128 v16, v[20:23] offset:16128
	ds_write_b128 v17, v[24:27] offset:16
	buffer_store_dword v8, off, s[36:39], 0 offset:472 ; 4-byte Folded Spill
	ds_write_b128 v8, v[104:107] offset:16
	v_lshlrev_b32_e32 v8, 5, v108
	buffer_store_dword v17, off, s[36:39], 0 offset:468 ; 4-byte Folded Spill
	ds_write_b128 v16, v[12:15] offset:19712
	buffer_store_dword v8, off, s[36:39], 0 offset:816 ; 4-byte Folded Spill
	s_and_saveexec_b64 s[2:3], s[0:1]
	s_cbranch_execz .LBB0_7
; %bb.6:
	v_lshlrev_b32_e32 v8, 5, v108
	ds_write_b128 v8, v[4:7]
	ds_write_b128 v8, v[0:3] offset:16
.LBB0_7:
	s_or_b64 exec, exec, s[2:3]
	s_waitcnt lgkmcnt(0)
	; wave barrier
	s_waitcnt lgkmcnt(0)
	ds_read_b128 v[52:55], v184
	ds_read_b128 v[48:51], v184 offset:896
	ds_read_b128 v[104:107], v184 offset:11200
	;; [unrolled: 1-line block ×23, first 2 shown]
	s_and_saveexec_b64 s[2:3], s[0:1]
	s_cbranch_execz .LBB0_9
; %bb.8:
	ds_read_b128 v[4:7], v184 offset:10752
	ds_read_b128 v[0:3], v184 offset:21952
.LBB0_9:
	s_or_b64 exec, exec, s[2:3]
	v_and_b32_e32 v194, 1, v159
	v_lshlrev_b32_e32 v96, 4, v194
	global_load_dwordx4 v[96:99], v96, s[4:5]
	s_movk_i32 s2, 0x7c
	s_waitcnt lgkmcnt(0)
	; wave barrier
	s_waitcnt lgkmcnt(0)
	s_movk_i32 s3, 0x2fc
	s_waitcnt vmcnt(0)
	v_mul_f64 v[109:110], v[106:107], v[98:99]
	v_fma_f64 v[109:110], v[104:105], v[96:97], -v[109:110]
	v_mul_f64 v[104:105], v[104:105], v[98:99]
	v_fma_f64 v[104:105], v[106:107], v[96:97], v[104:105]
	v_mul_f64 v[106:107], v[94:95], v[98:99]
	v_fma_f64 v[124:125], v[92:93], v[96:97], -v[106:107]
	v_mul_f64 v[92:93], v[92:93], v[98:99]
	v_fma_f64 v[92:93], v[94:95], v[96:97], v[92:93]
	v_mul_f64 v[94:95], v[102:103], v[98:99]
	v_fma_f64 v[126:127], v[100:101], v[96:97], -v[94:95]
	v_mul_f64 v[94:95], v[100:101], v[98:99]
	v_add_f64 v[100:101], v[52:53], -v[109:110]
	v_and_or_b32 v109, v122, s2, v194
	v_lshlrev_b32_e32 v109, 4, v109
	s_movk_i32 s2, 0xfc
	buffer_store_dword v109, off, s[36:39], 0 offset:476 ; 4-byte Folded Spill
	v_fma_f64 v[128:129], v[102:103], v[96:97], v[94:95]
	v_mul_f64 v[94:95], v[86:87], v[98:99]
	v_add_f64 v[102:103], v[54:55], -v[104:105]
	v_fma_f64 v[104:105], v[52:53], 2.0, -v[100:101]
	v_fma_f64 v[130:131], v[84:85], v[96:97], -v[94:95]
	v_mul_f64 v[84:85], v[84:85], v[98:99]
	v_fma_f64 v[106:107], v[54:55], 2.0, -v[102:103]
	ds_write_b128 v109, v[100:103] offset:32
	v_and_or_b32 v100, v123, s2, v194
	v_lshlrev_b32_e32 v100, 4, v100
	s_movk_i32 s2, 0x1fc
	buffer_store_dword v100, off, s[36:39], 0 offset:480 ; 4-byte Folded Spill
	v_fma_f64 v[132:133], v[86:87], v[96:97], v[84:85]
	v_mul_f64 v[84:85], v[90:91], v[98:99]
	ds_write_b128 v109, v[104:107]
	v_fma_f64 v[134:135], v[88:89], v[96:97], -v[84:85]
	v_mul_f64 v[84:85], v[88:89], v[98:99]
	v_add_f64 v[88:89], v[48:49], -v[124:125]
	v_fma_f64 v[136:137], v[90:91], v[96:97], v[84:85]
	v_mul_f64 v[84:85], v[78:79], v[98:99]
	v_add_f64 v[90:91], v[50:51], -v[92:93]
	v_fma_f64 v[92:93], v[48:49], 2.0, -v[88:89]
	v_fma_f64 v[138:139], v[76:77], v[96:97], -v[84:85]
	v_mul_f64 v[76:77], v[76:77], v[98:99]
	v_fma_f64 v[94:95], v[50:51], 2.0, -v[90:91]
	ds_write_b128 v100, v[88:91] offset:32
	v_and_or_b32 v88, v120, s2, v194
	v_lshlrev_b32_e32 v88, 4, v88
	buffer_store_dword v88, off, s[36:39], 0 offset:484 ; 4-byte Folded Spill
	v_fma_f64 v[140:141], v[78:79], v[96:97], v[76:77]
	v_mul_f64 v[76:77], v[82:83], v[98:99]
	ds_write_b128 v100, v[92:95]
	v_fma_f64 v[142:143], v[80:81], v[96:97], -v[76:77]
	v_mul_f64 v[76:77], v[80:81], v[98:99]
	v_add_f64 v[80:81], v[44:45], -v[126:127]
	v_add_f64 v[48:49], v[28:29], -v[142:143]
	v_fma_f64 v[147:148], v[82:83], v[96:97], v[76:77]
	v_mul_f64 v[76:77], v[70:71], v[98:99]
	v_add_f64 v[82:83], v[46:47], -v[128:129]
	v_fma_f64 v[84:85], v[44:45], 2.0, -v[80:81]
	v_fma_f64 v[52:53], v[28:29], 2.0, -v[48:49]
	v_add_f64 v[50:51], v[30:31], -v[147:148]
	v_fma_f64 v[149:150], v[68:69], v[96:97], -v[76:77]
	v_mul_f64 v[68:69], v[68:69], v[98:99]
	v_fma_f64 v[86:87], v[46:47], 2.0, -v[82:83]
	ds_write_b128 v88, v[80:83] offset:32
	v_and_or_b32 v80, v121, s2, v194
	v_lshlrev_b32_e32 v80, 4, v80
	s_movk_i32 s2, 0x3fc
	v_fma_f64 v[54:55], v[30:31], 2.0, -v[50:51]
	buffer_store_dword v80, off, s[36:39], 0 offset:488 ; 4-byte Folded Spill
	v_fma_f64 v[151:152], v[70:71], v[96:97], v[68:69]
	v_mul_f64 v[68:69], v[74:75], v[98:99]
	ds_write_b128 v88, v[84:87]
	v_fma_f64 v[153:154], v[72:73], v[96:97], -v[68:69]
	v_mul_f64 v[68:69], v[72:73], v[98:99]
	v_add_f64 v[72:73], v[40:41], -v[130:131]
	v_fma_f64 v[155:156], v[74:75], v[96:97], v[68:69]
	v_mul_f64 v[68:69], v[62:63], v[98:99]
	v_add_f64 v[74:75], v[42:43], -v[132:133]
	v_fma_f64 v[76:77], v[40:41], 2.0, -v[72:73]
	v_add_f64 v[40:41], v[24:25], -v[149:150]
	v_fma_f64 v[157:158], v[60:61], v[96:97], -v[68:69]
	v_mul_f64 v[60:61], v[60:61], v[98:99]
	v_fma_f64 v[78:79], v[42:43], 2.0, -v[74:75]
	v_add_f64 v[42:43], v[26:27], -v[151:152]
	v_fma_f64 v[44:45], v[24:25], 2.0, -v[40:41]
	ds_write_b128 v80, v[72:75] offset:32
	v_and_or_b32 v72, v116, s2, v194
	v_lshlrev_b32_e32 v72, 4, v72
	v_add_f64 v[24:25], v[16:17], -v[157:158]
	v_fma_f64 v[161:162], v[62:63], v[96:97], v[60:61]
	v_mul_f64 v[60:61], v[66:67], v[98:99]
	v_fma_f64 v[46:47], v[26:27], 2.0, -v[42:43]
	ds_write_b128 v80, v[76:79]
	buffer_store_dword v72, off, s[36:39], 0 offset:492 ; 4-byte Folded Spill
	v_fma_f64 v[28:29], v[16:17], 2.0, -v[24:25]
	v_add_f64 v[26:27], v[18:19], -v[161:162]
	v_fma_f64 v[163:164], v[64:65], v[96:97], -v[60:61]
	v_mul_f64 v[60:61], v[64:65], v[98:99]
	v_add_f64 v[64:65], v[36:37], -v[134:135]
	v_fma_f64 v[30:31], v[18:19], 2.0, -v[26:27]
	v_add_f64 v[16:17], v[8:9], -v[163:164]
	v_fma_f64 v[165:166], v[66:67], v[96:97], v[60:61]
	v_mul_f64 v[60:61], v[58:59], v[98:99]
	v_add_f64 v[66:67], v[38:39], -v[136:137]
	v_fma_f64 v[68:69], v[36:37], 2.0, -v[64:65]
	v_add_f64 v[18:19], v[10:11], -v[165:166]
	v_fma_f64 v[167:168], v[56:57], v[96:97], -v[60:61]
	v_mul_f64 v[56:57], v[56:57], v[98:99]
	v_fma_f64 v[70:71], v[38:39], 2.0, -v[66:67]
	ds_write_b128 v72, v[64:67] offset:32
	v_and_or_b32 v64, v114, s3, v194
	v_lshlrev_b32_e32 v64, 4, v64
	buffer_store_dword v64, off, s[36:39], 0 offset:496 ; 4-byte Folded Spill
	v_fma_f64 v[169:170], v[58:59], v[96:97], v[56:57]
	v_mul_f64 v[56:57], v[2:3], v[98:99]
	v_add_f64 v[58:59], v[34:35], -v[140:141]
	ds_write_b128 v72, v[68:71]
	v_fma_f64 v[171:172], v[0:1], v[96:97], -v[56:57]
	v_mul_f64 v[0:1], v[0:1], v[98:99]
	v_add_f64 v[56:57], v[32:33], -v[138:139]
	v_fma_f64 v[62:63], v[34:35], 2.0, -v[58:59]
	v_add_f64 v[34:35], v[22:23], -v[155:156]
	v_fma_f64 v[2:3], v[2:3], v[96:97], v[0:1]
	v_fma_f64 v[60:61], v[32:33], 2.0, -v[56:57]
	v_add_f64 v[32:33], v[20:21], -v[153:154]
	v_fma_f64 v[38:39], v[22:23], 2.0, -v[34:35]
	v_fma_f64 v[22:23], v[10:11], 2.0, -v[18:19]
	v_add_f64 v[10:11], v[14:15], -v[169:170]
	v_add_f64 v[0:1], v[4:5], -v[171:172]
	ds_write_b128 v64, v[56:59] offset:32
	v_add_f64 v[2:3], v[6:7], -v[2:3]
	v_and_or_b32 v56, v117, s2, v194
	v_fma_f64 v[36:37], v[20:21], 2.0, -v[32:33]
	v_fma_f64 v[20:21], v[8:9], 2.0, -v[16:17]
	v_add_f64 v[8:9], v[12:13], -v[167:168]
	v_lshlrev_b32_e32 v56, 4, v56
	ds_write_b128 v64, v[60:63]
	ds_write_b128 v56, v[48:51] offset:32
	v_and_or_b32 v48, v118, s2, v194
	v_lshlrev_b32_e32 v48, 4, v48
	ds_write_b128 v56, v[52:55]
	ds_write_b128 v48, v[40:43] offset:32
	v_and_or_b32 v40, v119, s2, v194
	v_fma_f64 v[12:13], v[12:13], 2.0, -v[8:9]
	v_fma_f64 v[14:15], v[14:15], 2.0, -v[10:11]
	;; [unrolled: 1-line block ×4, first 2 shown]
	v_lshlrev_b32_e32 v40, 4, v40
	s_movk_i32 s2, 0x7fc
	ds_write_b128 v48, v[44:47]
	ds_write_b128 v40, v[32:35] offset:32
	v_and_or_b32 v32, v115, s2, v194
	v_lshlrev_b32_e32 v32, 4, v32
	s_movk_i32 s2, 0x4fc
	ds_write_b128 v40, v[36:39]
	ds_write_b128 v32, v[24:27] offset:32
	v_and_or_b32 v24, v113, s2, v194
	;; [unrolled: 5-line block ×3, first 2 shown]
	v_lshlrev_b32_e32 v16, 4, v16
	ds_write_b128 v24, v[20:23]
	ds_write_b128 v16, v[8:11] offset:32
	v_lshlrev_b32_e32 v8, 1, v108
	buffer_store_dword v56, off, s[36:39], 0 offset:500 ; 4-byte Folded Spill
	buffer_store_dword v48, off, s[36:39], 0 offset:504 ; 4-byte Folded Spill
	;; [unrolled: 1-line block ×5, first 2 shown]
	ds_write_b128 v16, v[12:15]
	buffer_store_dword v16, off, s[36:39], 0 offset:520 ; 4-byte Folded Spill
	buffer_store_dword v8, off, s[36:39], 0 ; 4-byte Folded Spill
	s_and_saveexec_b64 s[2:3], s[0:1]
	s_cbranch_execz .LBB0_11
; %bb.10:
	buffer_load_dword v8, off, s[36:39], 0  ; 4-byte Folded Reload
	s_movk_i32 s14, 0x57c
	s_waitcnt vmcnt(0)
	v_and_or_b32 v8, v8, s14, v194
	v_lshlrev_b32_e32 v8, 4, v8
	ds_write_b128 v8, v[4:7]
	ds_write_b128 v8, v[0:3] offset:32
.LBB0_11:
	s_or_b64 exec, exec, s[2:3]
	s_waitcnt lgkmcnt(0)
	; wave barrier
	s_waitcnt lgkmcnt(0)
	ds_read_b128 v[52:55], v184
	ds_read_b128 v[48:51], v184 offset:896
	ds_read_b128 v[108:111], v184 offset:11200
	;; [unrolled: 1-line block ×23, first 2 shown]
	s_and_saveexec_b64 s[2:3], s[0:1]
	s_cbranch_execz .LBB0_13
; %bb.12:
	ds_read_b128 v[4:7], v184 offset:10752
	ds_read_b128 v[0:3], v184 offset:21952
.LBB0_13:
	s_or_b64 exec, exec, s[2:3]
	v_and_b32_e32 v175, 3, v159
	v_lshlrev_b32_e32 v100, 4, v175
	global_load_dwordx4 v[100:103], v100, s[4:5] offset:32
	s_movk_i32 s2, 0x78
	v_and_or_b32 v122, v122, s2, v175
	v_lshlrev_b32_e32 v122, 4, v122
	s_movk_i32 s2, 0xf8
	s_waitcnt lgkmcnt(0)
	; wave barrier
	s_waitcnt lgkmcnt(0)
	s_movk_i32 s3, 0x2f8
	buffer_store_dword v122, off, s[36:39], 0 offset:528 ; 4-byte Folded Spill
	buffer_store_dword v175, off, s[36:39], 0 offset:812 ; 4-byte Folded Spill
	s_waitcnt vmcnt(2)
	v_mul_f64 v[124:125], v[110:111], v[102:103]
	v_fma_f64 v[124:125], v[108:109], v[100:101], -v[124:125]
	v_mul_f64 v[108:109], v[108:109], v[102:103]
	v_fma_f64 v[108:109], v[110:111], v[100:101], v[108:109]
	v_mul_f64 v[110:111], v[94:95], v[102:103]
	v_fma_f64 v[126:127], v[92:93], v[100:101], -v[110:111]
	v_mul_f64 v[92:93], v[92:93], v[102:103]
	v_fma_f64 v[92:93], v[94:95], v[100:101], v[92:93]
	v_mul_f64 v[94:95], v[106:107], v[102:103]
	v_fma_f64 v[128:129], v[104:105], v[100:101], -v[94:95]
	v_mul_f64 v[94:95], v[104:105], v[102:103]
	v_add_f64 v[104:105], v[52:53], -v[124:125]
	v_fma_f64 v[130:131], v[106:107], v[100:101], v[94:95]
	v_mul_f64 v[94:95], v[86:87], v[102:103]
	v_add_f64 v[106:107], v[54:55], -v[108:109]
	v_fma_f64 v[108:109], v[52:53], 2.0, -v[104:105]
	v_fma_f64 v[132:133], v[84:85], v[100:101], -v[94:95]
	v_mul_f64 v[84:85], v[84:85], v[102:103]
	v_fma_f64 v[110:111], v[54:55], 2.0, -v[106:107]
	ds_write_b128 v122, v[104:107] offset:64
	v_and_or_b32 v104, v123, s2, v175
	v_lshlrev_b32_e32 v104, 4, v104
	s_movk_i32 s2, 0x1f8
	buffer_store_dword v104, off, s[36:39], 0 offset:532 ; 4-byte Folded Spill
	v_fma_f64 v[134:135], v[86:87], v[100:101], v[84:85]
	v_mul_f64 v[84:85], v[90:91], v[102:103]
	ds_write_b128 v122, v[108:111]
	v_fma_f64 v[136:137], v[88:89], v[100:101], -v[84:85]
	v_mul_f64 v[84:85], v[88:89], v[102:103]
	v_add_f64 v[88:89], v[48:49], -v[126:127]
	v_fma_f64 v[138:139], v[90:91], v[100:101], v[84:85]
	v_mul_f64 v[84:85], v[78:79], v[102:103]
	v_add_f64 v[90:91], v[50:51], -v[92:93]
	v_fma_f64 v[92:93], v[48:49], 2.0, -v[88:89]
	v_fma_f64 v[140:141], v[76:77], v[100:101], -v[84:85]
	v_mul_f64 v[76:77], v[76:77], v[102:103]
	v_fma_f64 v[94:95], v[50:51], 2.0, -v[90:91]
	ds_write_b128 v104, v[88:91] offset:64
	v_and_or_b32 v88, v120, s2, v175
	v_lshlrev_b32_e32 v88, 4, v88
	buffer_store_dword v88, off, s[36:39], 0 offset:536 ; 4-byte Folded Spill
	v_fma_f64 v[142:143], v[78:79], v[100:101], v[76:77]
	v_mul_f64 v[76:77], v[82:83], v[102:103]
	ds_write_b128 v104, v[92:95]
	v_fma_f64 v[147:148], v[80:81], v[100:101], -v[76:77]
	v_mul_f64 v[76:77], v[80:81], v[102:103]
	v_add_f64 v[80:81], v[44:45], -v[128:129]
	v_add_f64 v[48:49], v[28:29], -v[147:148]
	v_fma_f64 v[149:150], v[82:83], v[100:101], v[76:77]
	v_mul_f64 v[76:77], v[70:71], v[102:103]
	v_add_f64 v[82:83], v[46:47], -v[130:131]
	v_fma_f64 v[84:85], v[44:45], 2.0, -v[80:81]
	v_fma_f64 v[52:53], v[28:29], 2.0, -v[48:49]
	v_add_f64 v[50:51], v[30:31], -v[149:150]
	v_fma_f64 v[151:152], v[68:69], v[100:101], -v[76:77]
	v_mul_f64 v[68:69], v[68:69], v[102:103]
	v_fma_f64 v[86:87], v[46:47], 2.0, -v[82:83]
	ds_write_b128 v88, v[80:83] offset:64
	v_and_or_b32 v80, v121, s2, v175
	v_lshlrev_b32_e32 v80, 4, v80
	s_movk_i32 s2, 0x3f8
	v_fma_f64 v[54:55], v[30:31], 2.0, -v[50:51]
	buffer_store_dword v80, off, s[36:39], 0 offset:540 ; 4-byte Folded Spill
	v_fma_f64 v[153:154], v[70:71], v[100:101], v[68:69]
	v_mul_f64 v[68:69], v[74:75], v[102:103]
	ds_write_b128 v88, v[84:87]
	v_fma_f64 v[155:156], v[72:73], v[100:101], -v[68:69]
	v_mul_f64 v[68:69], v[72:73], v[102:103]
	v_add_f64 v[72:73], v[40:41], -v[132:133]
	v_fma_f64 v[157:158], v[74:75], v[100:101], v[68:69]
	v_mul_f64 v[68:69], v[62:63], v[102:103]
	v_add_f64 v[74:75], v[42:43], -v[134:135]
	v_fma_f64 v[76:77], v[40:41], 2.0, -v[72:73]
	v_add_f64 v[40:41], v[24:25], -v[151:152]
	v_fma_f64 v[161:162], v[60:61], v[100:101], -v[68:69]
	v_mul_f64 v[60:61], v[60:61], v[102:103]
	v_fma_f64 v[78:79], v[42:43], 2.0, -v[74:75]
	v_add_f64 v[42:43], v[26:27], -v[153:154]
	v_fma_f64 v[44:45], v[24:25], 2.0, -v[40:41]
	ds_write_b128 v80, v[72:75] offset:64
	v_and_or_b32 v72, v116, s2, v175
	v_lshlrev_b32_e32 v72, 4, v72
	v_add_f64 v[24:25], v[16:17], -v[161:162]
	v_fma_f64 v[163:164], v[62:63], v[100:101], v[60:61]
	v_mul_f64 v[60:61], v[66:67], v[102:103]
	v_fma_f64 v[46:47], v[26:27], 2.0, -v[42:43]
	ds_write_b128 v80, v[76:79]
	buffer_store_dword v72, off, s[36:39], 0 offset:544 ; 4-byte Folded Spill
	v_fma_f64 v[28:29], v[16:17], 2.0, -v[24:25]
	v_add_f64 v[26:27], v[18:19], -v[163:164]
	v_fma_f64 v[165:166], v[64:65], v[100:101], -v[60:61]
	v_mul_f64 v[60:61], v[64:65], v[102:103]
	v_add_f64 v[64:65], v[36:37], -v[136:137]
	v_fma_f64 v[30:31], v[18:19], 2.0, -v[26:27]
	v_add_f64 v[16:17], v[8:9], -v[165:166]
	v_fma_f64 v[167:168], v[66:67], v[100:101], v[60:61]
	v_mul_f64 v[60:61], v[58:59], v[102:103]
	v_add_f64 v[66:67], v[38:39], -v[138:139]
	v_fma_f64 v[68:69], v[36:37], 2.0, -v[64:65]
	v_add_f64 v[18:19], v[10:11], -v[167:168]
	v_fma_f64 v[169:170], v[56:57], v[100:101], -v[60:61]
	v_mul_f64 v[56:57], v[56:57], v[102:103]
	v_fma_f64 v[70:71], v[38:39], 2.0, -v[66:67]
	ds_write_b128 v72, v[64:67] offset:64
	v_and_or_b32 v64, v114, s3, v175
	v_lshlrev_b32_e32 v64, 4, v64
	buffer_store_dword v64, off, s[36:39], 0 offset:548 ; 4-byte Folded Spill
	v_fma_f64 v[171:172], v[58:59], v[100:101], v[56:57]
	v_mul_f64 v[56:57], v[2:3], v[102:103]
	v_add_f64 v[58:59], v[34:35], -v[142:143]
	ds_write_b128 v72, v[68:71]
	v_fma_f64 v[173:174], v[0:1], v[100:101], -v[56:57]
	v_add_f64 v[56:57], v[32:33], -v[140:141]
	v_mul_f64 v[0:1], v[0:1], v[102:103]
	v_fma_f64 v[62:63], v[34:35], 2.0, -v[58:59]
	v_add_f64 v[34:35], v[22:23], -v[157:158]
	v_fma_f64 v[60:61], v[32:33], 2.0, -v[56:57]
	v_add_f64 v[32:33], v[20:21], -v[155:156]
	v_fma_f64 v[2:3], v[2:3], v[100:101], v[0:1]
	v_fma_f64 v[38:39], v[22:23], 2.0, -v[34:35]
	v_fma_f64 v[22:23], v[10:11], 2.0, -v[18:19]
	v_add_f64 v[10:11], v[14:15], -v[171:172]
	ds_write_b128 v64, v[56:59] offset:64
	v_and_or_b32 v56, v117, s2, v175
	v_lshlrev_b32_e32 v56, 4, v56
	v_fma_f64 v[36:37], v[20:21], 2.0, -v[32:33]
	v_fma_f64 v[20:21], v[8:9], 2.0, -v[16:17]
	v_add_f64 v[8:9], v[12:13], -v[169:170]
	ds_write_b128 v64, v[60:63]
	ds_write_b128 v56, v[48:51] offset:64
	v_and_or_b32 v48, v118, s2, v175
	v_lshlrev_b32_e32 v48, 4, v48
	v_fma_f64 v[14:15], v[14:15], 2.0, -v[10:11]
	v_add_f64 v[0:1], v[4:5], -v[173:174]
	v_add_f64 v[2:3], v[6:7], -v[2:3]
	v_fma_f64 v[12:13], v[12:13], 2.0, -v[8:9]
	ds_write_b128 v56, v[52:55]
	ds_write_b128 v48, v[40:43] offset:64
	v_and_or_b32 v40, v119, s2, v175
	v_lshlrev_b32_e32 v40, 4, v40
	s_movk_i32 s2, 0x7f8
	ds_write_b128 v48, v[44:47]
	ds_write_b128 v40, v[32:35] offset:64
	v_and_or_b32 v32, v115, s2, v175
	v_lshlrev_b32_e32 v32, 4, v32
	s_movk_i32 s2, 0x4f8
	;; [unrolled: 5-line block ×3, first 2 shown]
	ds_write_b128 v32, v[28:31]
	ds_write_b128 v24, v[16:19] offset:64
	v_and_or_b32 v16, v112, s2, v175
	v_lshlrev_b32_e32 v16, 4, v16
	buffer_store_dword v56, off, s[36:39], 0 offset:552 ; 4-byte Folded Spill
	buffer_store_dword v48, off, s[36:39], 0 offset:556 ; 4-byte Folded Spill
	;; [unrolled: 1-line block ×4, first 2 shown]
	ds_write_b128 v24, v[20:23]
	buffer_store_dword v24, off, s[36:39], 0 offset:568 ; 4-byte Folded Spill
	ds_write_b128 v16, v[12:15]
	buffer_store_dword v16, off, s[36:39], 0 offset:572 ; 4-byte Folded Spill
	ds_write_b128 v16, v[8:11] offset:64
	s_and_saveexec_b64 s[2:3], s[0:1]
	s_cbranch_execz .LBB0_15
; %bb.14:
	buffer_load_dword v8, off, s[36:39], 0  ; 4-byte Folded Reload
	v_fma_f64 v[6:7], v[6:7], 2.0, -v[2:3]
	v_fma_f64 v[4:5], v[4:5], 2.0, -v[0:1]
	s_movk_i32 s14, 0x578
	v_and_b32_e32 v9, 3, v159
	s_waitcnt vmcnt(0)
	v_and_or_b32 v8, v8, s14, v9
	v_lshlrev_b32_e32 v8, 4, v8
	ds_write_b128 v8, v[4:7]
	ds_write_b128 v8, v[0:3] offset:64
.LBB0_15:
	s_or_b64 exec, exec, s[2:3]
	v_and_b32_e32 v142, 7, v159
	v_lshlrev_b32_e32 v4, 6, v142
	s_waitcnt lgkmcnt(0)
	; wave barrier
	s_waitcnt lgkmcnt(0)
	ds_read_b128 v[30:33], v184
	ds_read_b128 v[42:45], v184 offset:4480
	ds_read_b128 v[46:49], v184 offset:8960
	;; [unrolled: 1-line block ×24, first 2 shown]
	global_load_dwordx4 v[120:123], v4, s[4:5] offset:144
	global_load_dwordx4 v[124:127], v4, s[4:5] offset:128
	;; [unrolled: 1-line block ×4, first 2 shown]
	s_mov_b32 s16, 0x134454ff
	s_mov_b32 s17, 0x3fee6f0e
	;; [unrolled: 1-line block ×10, first 2 shown]
	s_waitcnt lgkmcnt(0)
	; wave barrier
	s_waitcnt vmcnt(0) lgkmcnt(0)
	v_mul_f64 v[4:5], v[44:45], v[134:135]
	v_fma_f64 v[62:63], v[42:43], v[132:133], -v[4:5]
	v_mul_f64 v[4:5], v[42:43], v[134:135]
	v_mul_f64 v[42:43], v[138:139], v[130:131]
	v_fma_f64 v[155:156], v[44:45], v[132:133], v[4:5]
	v_mul_f64 v[4:5], v[48:49], v[130:131]
	v_fma_f64 v[106:107], v[136:137], v[128:129], -v[42:43]
	v_mul_f64 v[42:43], v[136:137], v[130:131]
	v_mul_f64 v[44:45], v[149:150], v[126:127]
	v_fma_f64 v[157:158], v[46:47], v[128:129], -v[4:5]
	v_mul_f64 v[4:5], v[46:47], v[130:131]
	v_fma_f64 v[42:43], v[138:139], v[128:129], v[42:43]
	v_fma_f64 v[138:139], v[147:148], v[124:125], -v[44:45]
	v_mul_f64 v[44:45], v[147:148], v[126:127]
	v_fma_f64 v[161:162], v[48:49], v[128:129], v[4:5]
	v_mul_f64 v[4:5], v[52:53], v[126:127]
	v_fma_f64 v[46:47], v[149:150], v[124:125], v[44:45]
	v_mul_f64 v[44:45], v[153:154], v[122:123]
	v_fma_f64 v[163:164], v[50:51], v[124:125], -v[4:5]
	v_mul_f64 v[4:5], v[50:51], v[126:127]
	v_fma_f64 v[140:141], v[151:152], v[120:121], -v[44:45]
	v_mul_f64 v[44:45], v[151:152], v[122:123]
	v_fma_f64 v[50:51], v[52:53], v[124:125], v[4:5]
	v_mul_f64 v[4:5], v[56:57], v[122:123]
	v_fma_f64 v[52:53], v[54:55], v[120:121], -v[4:5]
	v_mul_f64 v[4:5], v[54:55], v[122:123]
	v_fma_f64 v[54:55], v[56:57], v[120:121], v[4:5]
	v_mul_f64 v[4:5], v[60:61], v[134:135]
	v_fma_f64 v[56:57], v[58:59], v[132:133], -v[4:5]
	v_mul_f64 v[4:5], v[58:59], v[134:135]
	v_add_f64 v[58:59], v[157:158], -v[163:164]
	v_fma_f64 v[64:65], v[60:61], v[132:133], v[4:5]
	v_mul_f64 v[4:5], v[68:69], v[130:131]
	v_fma_f64 v[60:61], v[66:67], v[128:129], -v[4:5]
	v_mul_f64 v[4:5], v[66:67], v[130:131]
	v_fma_f64 v[68:69], v[68:69], v[128:129], v[4:5]
	v_mul_f64 v[4:5], v[72:73], v[126:127]
	v_fma_f64 v[74:75], v[70:71], v[124:125], -v[4:5]
	v_mul_f64 v[4:5], v[70:71], v[126:127]
	;; [unrolled: 4-line block ×3, first 2 shown]
	v_add_f64 v[66:67], v[78:79], -v[74:75]
	v_fma_f64 v[72:73], v[82:83], v[120:121], v[4:5]
	v_mul_f64 v[4:5], v[86:87], v[134:135]
	v_add_f64 v[82:83], v[68:69], -v[70:71]
	v_add_f64 v[147:148], v[74:75], -v[78:79]
	v_fma_f64 v[76:77], v[84:85], v[132:133], -v[4:5]
	v_mul_f64 v[4:5], v[84:85], v[134:135]
	v_fma_f64 v[84:85], v[86:87], v[132:133], v[4:5]
	v_mul_f64 v[4:5], v[90:91], v[130:131]
	v_fma_f64 v[80:81], v[88:89], v[128:129], -v[4:5]
	v_mul_f64 v[4:5], v[88:89], v[130:131]
	v_fma_f64 v[86:87], v[90:91], v[128:129], v[4:5]
	v_mul_f64 v[4:5], v[94:95], v[126:127]
	;; [unrolled: 4-line block ×4, first 2 shown]
	v_fma_f64 v[90:91], v[112:113], v[120:121], v[4:5]
	v_mul_f64 v[4:5], v[116:117], v[134:135]
	v_fma_f64 v[92:93], v[114:115], v[132:133], -v[4:5]
	v_mul_f64 v[4:5], v[114:115], v[134:135]
	v_fma_f64 v[114:115], v[34:35], v[132:133], -v[44:45]
	v_mul_f64 v[34:35], v[34:35], v[134:135]
	v_fma_f64 v[4:5], v[116:117], v[132:133], v[4:5]
	v_fma_f64 v[44:45], v[36:37], v[132:133], v[34:35]
	v_mul_f64 v[34:35], v[28:29], v[130:131]
	v_add_f64 v[36:37], v[163:164], -v[52:53]
	v_fma_f64 v[116:117], v[26:27], v[128:129], -v[34:35]
	v_mul_f64 v[26:27], v[26:27], v[130:131]
	v_add_f64 v[34:35], v[52:53], -v[163:164]
	v_fma_f64 v[48:49], v[28:29], v[128:129], v[26:27]
	v_mul_f64 v[26:27], v[24:25], v[126:127]
	v_add_f64 v[28:29], v[161:162], -v[50:51]
	v_fma_f64 v[118:119], v[22:23], v[124:125], -v[26:27]
	v_mul_f64 v[22:23], v[22:23], v[126:127]
	v_add_f64 v[26:27], v[62:63], -v[157:158]
	v_fma_f64 v[94:95], v[24:25], v[124:125], v[22:23]
	v_mul_f64 v[22:23], v[20:21], v[122:123]
	v_add_f64 v[24:25], v[155:156], -v[54:55]
	v_add_f64 v[34:35], v[26:27], v[34:35]
	v_fma_f64 v[136:137], v[18:19], v[120:121], -v[22:23]
	v_mul_f64 v[18:19], v[18:19], v[122:123]
	v_fma_f64 v[112:113], v[20:21], v[120:121], v[18:19]
	v_add_f64 v[20:21], v[157:158], v[163:164]
	v_add_f64 v[18:19], v[30:31], v[62:63]
	v_fma_f64 v[20:21], v[20:21], -0.5, v[30:31]
	v_add_f64 v[18:19], v[18:19], v[157:158]
	v_fma_f64 v[22:23], v[24:25], s[16:17], v[20:21]
	v_fma_f64 v[20:21], v[24:25], s[18:19], v[20:21]
	v_add_f64 v[18:19], v[18:19], v[163:164]
	v_fma_f64 v[22:23], v[28:29], s[14:15], v[22:23]
	v_fma_f64 v[20:21], v[28:29], s[20:21], v[20:21]
	;; [unrolled: 3-line block ×3, first 2 shown]
	v_add_f64 v[20:21], v[62:63], v[52:53]
	v_add_f64 v[34:35], v[157:158], -v[62:63]
	v_add_f64 v[52:53], v[62:63], -v[52:53]
	;; [unrolled: 1-line block ×3, first 2 shown]
	v_fma_f64 v[20:21], v[20:21], -0.5, v[30:31]
	v_add_f64 v[36:37], v[34:35], v[36:37]
	v_fma_f64 v[30:31], v[28:29], s[18:19], v[20:21]
	v_fma_f64 v[20:21], v[28:29], s[16:17], v[20:21]
	;; [unrolled: 1-line block ×4, first 2 shown]
	v_add_f64 v[24:25], v[161:162], v[50:51]
	v_fma_f64 v[34:35], v[36:37], s[2:3], v[30:31]
	v_fma_f64 v[30:31], v[36:37], s[2:3], v[20:21]
	v_fma_f64 v[24:25], v[24:25], -0.5, v[32:33]
	v_add_f64 v[36:37], v[155:156], -v[161:162]
	v_add_f64 v[20:21], v[32:33], v[155:156]
	v_fma_f64 v[28:29], v[52:53], s[18:19], v[24:25]
	v_fma_f64 v[24:25], v[52:53], s[16:17], v[24:25]
	v_add_f64 v[36:37], v[36:37], v[62:63]
	v_add_f64 v[20:21], v[20:21], v[161:162]
	v_add_f64 v[62:63], v[161:162], -v[155:156]
	v_fma_f64 v[28:29], v[58:59], s[20:21], v[28:29]
	v_fma_f64 v[24:25], v[58:59], s[14:15], v[24:25]
	v_add_f64 v[20:21], v[20:21], v[50:51]
	v_add_f64 v[50:51], v[50:51], -v[54:55]
	v_fma_f64 v[28:29], v[36:37], s[2:3], v[28:29]
	v_fma_f64 v[24:25], v[36:37], s[2:3], v[24:25]
	v_add_f64 v[36:37], v[155:156], v[54:55]
	v_add_f64 v[20:21], v[20:21], v[54:55]
	;; [unrolled: 1-line block ×3, first 2 shown]
	v_add_f64 v[62:63], v[64:65], -v[72:73]
	v_fma_f64 v[32:33], v[36:37], -0.5, v[32:33]
	v_fma_f64 v[36:37], v[58:59], s[16:17], v[32:33]
	v_fma_f64 v[32:33], v[58:59], s[18:19], v[32:33]
	v_add_f64 v[58:59], v[56:57], -v[60:61]
	v_fma_f64 v[36:37], v[52:53], s[20:21], v[36:37]
	v_fma_f64 v[32:33], v[52:53], s[14:15], v[32:33]
	v_add_f64 v[52:53], v[60:61], v[74:75]
	v_add_f64 v[66:67], v[58:59], v[66:67]
	v_fma_f64 v[36:37], v[50:51], s[2:3], v[36:37]
	v_fma_f64 v[32:33], v[50:51], s[2:3], v[32:33]
	v_fma_f64 v[52:53], v[52:53], -0.5, v[38:39]
	v_add_f64 v[50:51], v[38:39], v[56:57]
	v_fma_f64 v[54:55], v[62:63], s[16:17], v[52:53]
	v_fma_f64 v[52:53], v[62:63], s[18:19], v[52:53]
	v_add_f64 v[50:51], v[50:51], v[60:61]
	v_fma_f64 v[54:55], v[82:83], s[14:15], v[54:55]
	v_fma_f64 v[52:53], v[82:83], s[20:21], v[52:53]
	v_add_f64 v[50:51], v[50:51], v[74:75]
	v_add_f64 v[74:75], v[60:61], -v[74:75]
	v_fma_f64 v[58:59], v[66:67], s[2:3], v[54:55]
	v_fma_f64 v[54:55], v[66:67], s[2:3], v[52:53]
	v_add_f64 v[52:53], v[56:57], v[78:79]
	v_add_f64 v[66:67], v[60:61], -v[56:57]
	v_add_f64 v[50:51], v[50:51], v[78:79]
	v_add_f64 v[78:79], v[56:57], -v[78:79]
	v_add_f64 v[60:61], v[64:65], -v[68:69]
	v_fma_f64 v[38:39], v[52:53], -0.5, v[38:39]
	v_add_f64 v[147:148], v[66:67], v[147:148]
	v_fma_f64 v[52:53], v[82:83], s[18:19], v[38:39]
	v_fma_f64 v[38:39], v[82:83], s[16:17], v[38:39]
	v_add_f64 v[82:83], v[72:73], -v[70:71]
	v_fma_f64 v[52:53], v[62:63], s[14:15], v[52:53]
	v_fma_f64 v[38:39], v[62:63], s[20:21], v[38:39]
	v_add_f64 v[82:83], v[60:61], v[82:83]
	v_fma_f64 v[66:67], v[147:148], s[2:3], v[52:53]
	v_fma_f64 v[62:63], v[147:148], s[2:3], v[38:39]
	v_add_f64 v[38:39], v[40:41], v[64:65]
	v_add_f64 v[147:148], v[86:87], -v[88:89]
	v_add_f64 v[38:39], v[38:39], v[68:69]
	v_add_f64 v[38:39], v[38:39], v[70:71]
	;; [unrolled: 1-line block ×4, first 2 shown]
	v_fma_f64 v[38:39], v[38:39], -0.5, v[40:41]
	v_fma_f64 v[56:57], v[78:79], s[18:19], v[38:39]
	v_fma_f64 v[38:39], v[78:79], s[16:17], v[38:39]
	;; [unrolled: 1-line block ×6, first 2 shown]
	v_add_f64 v[38:39], v[64:65], v[72:73]
	v_add_f64 v[64:65], v[68:69], -v[64:65]
	v_add_f64 v[68:69], v[70:71], -v[72:73]
	;; [unrolled: 1-line block ×3, first 2 shown]
	v_fma_f64 v[38:39], v[38:39], -0.5, v[40:41]
	v_add_f64 v[64:65], v[64:65], v[68:69]
	v_fma_f64 v[40:41], v[74:75], s[16:17], v[38:39]
	v_fma_f64 v[38:39], v[74:75], s[18:19], v[38:39]
	v_add_f64 v[74:75], v[76:77], -v[80:81]
	v_fma_f64 v[40:41], v[78:79], s[20:21], v[40:41]
	v_fma_f64 v[38:39], v[78:79], s[14:15], v[38:39]
	v_add_f64 v[78:79], v[108:109], -v[104:105]
	v_fma_f64 v[68:69], v[64:65], s[2:3], v[40:41]
	v_fma_f64 v[64:65], v[64:65], s[2:3], v[38:39]
	v_add_f64 v[38:39], v[14:15], v[76:77]
	v_add_f64 v[40:41], v[84:85], -v[90:91]
	v_add_f64 v[74:75], v[74:75], v[78:79]
	v_add_f64 v[38:39], v[38:39], v[80:81]
	;; [unrolled: 1-line block ×5, first 2 shown]
	v_add_f64 v[104:105], v[80:81], -v[104:105]
	v_fma_f64 v[38:39], v[38:39], -0.5, v[14:15]
	v_fma_f64 v[72:73], v[40:41], s[16:17], v[38:39]
	v_fma_f64 v[38:39], v[40:41], s[18:19], v[38:39]
	;; [unrolled: 1-line block ×6, first 2 shown]
	v_add_f64 v[38:39], v[76:77], v[108:109]
	v_add_f64 v[72:73], v[80:81], -v[76:77]
	v_add_f64 v[80:81], v[84:85], -v[86:87]
	v_fma_f64 v[14:15], v[38:39], -0.5, v[14:15]
	v_add_f64 v[72:73], v[72:73], v[82:83]
	v_fma_f64 v[38:39], v[147:148], s[18:19], v[14:15]
	v_fma_f64 v[14:15], v[147:148], s[16:17], v[14:15]
	v_add_f64 v[147:148], v[42:43], -v[46:47]
	v_fma_f64 v[38:39], v[40:41], s[14:15], v[38:39]
	v_fma_f64 v[14:15], v[40:41], s[20:21], v[14:15]
	v_add_f64 v[40:41], v[76:77], -v[108:109]
	v_add_f64 v[108:109], v[90:91], -v[88:89]
	v_fma_f64 v[82:83], v[72:73], s[2:3], v[38:39]
	v_add_f64 v[38:39], v[16:17], v[84:85]
	v_fma_f64 v[14:15], v[72:73], s[2:3], v[14:15]
	v_add_f64 v[108:109], v[80:81], v[108:109]
	v_add_f64 v[38:39], v[38:39], v[86:87]
	;; [unrolled: 1-line block ×5, first 2 shown]
	v_fma_f64 v[38:39], v[38:39], -0.5, v[16:17]
	v_fma_f64 v[76:77], v[40:41], s[18:19], v[38:39]
	v_fma_f64 v[38:39], v[40:41], s[16:17], v[38:39]
	v_fma_f64 v[76:77], v[104:105], s[20:21], v[76:77]
	v_fma_f64 v[38:39], v[104:105], s[14:15], v[38:39]
	v_fma_f64 v[80:81], v[108:109], s[2:3], v[76:77]
	v_fma_f64 v[76:77], v[108:109], s[2:3], v[38:39]
	v_add_f64 v[38:39], v[84:85], v[90:91]
	v_add_f64 v[84:85], v[86:87], -v[84:85]
	v_add_f64 v[86:87], v[88:89], -v[90:91]
	;; [unrolled: 1-line block ×4, first 2 shown]
	v_fma_f64 v[16:17], v[38:39], -0.5, v[16:17]
	v_add_f64 v[86:87], v[84:85], v[86:87]
	v_fma_f64 v[38:39], v[104:105], s[16:17], v[16:17]
	v_fma_f64 v[16:17], v[104:105], s[18:19], v[16:17]
	v_add_f64 v[104:105], v[140:141], -v[138:139]
	v_fma_f64 v[38:39], v[40:41], s[20:21], v[38:39]
	v_fma_f64 v[16:17], v[40:41], s[14:15], v[16:17]
	v_add_f64 v[40:41], v[4:5], -v[110:111]
	v_add_f64 v[90:91], v[90:91], v[104:105]
	v_fma_f64 v[84:85], v[86:87], s[2:3], v[38:39]
	v_add_f64 v[38:39], v[10:11], v[92:93]
	v_fma_f64 v[16:17], v[86:87], s[2:3], v[16:17]
	v_add_f64 v[38:39], v[38:39], v[106:107]
	v_add_f64 v[38:39], v[38:39], v[138:139]
	;; [unrolled: 1-line block ×4, first 2 shown]
	v_add_f64 v[138:139], v[106:107], -v[138:139]
	v_fma_f64 v[38:39], v[38:39], -0.5, v[10:11]
	v_fma_f64 v[88:89], v[40:41], s[16:17], v[38:39]
	v_fma_f64 v[38:39], v[40:41], s[18:19], v[38:39]
	;; [unrolled: 1-line block ×6, first 2 shown]
	v_add_f64 v[38:39], v[92:93], v[140:141]
	v_add_f64 v[88:89], v[106:107], -v[92:93]
	v_add_f64 v[106:107], v[4:5], -v[42:43]
	v_fma_f64 v[10:11], v[38:39], -0.5, v[10:11]
	v_add_f64 v[88:89], v[88:89], v[108:109]
	v_fma_f64 v[38:39], v[147:148], s[18:19], v[10:11]
	v_fma_f64 v[10:11], v[147:148], s[16:17], v[10:11]
	v_add_f64 v[147:148], v[118:119], -v[136:137]
	v_fma_f64 v[38:39], v[40:41], s[14:15], v[38:39]
	v_fma_f64 v[10:11], v[40:41], s[20:21], v[10:11]
	v_add_f64 v[40:41], v[92:93], -v[140:141]
	v_add_f64 v[140:141], v[110:111], -v[46:47]
	v_fma_f64 v[108:109], v[88:89], s[2:3], v[38:39]
	v_add_f64 v[38:39], v[12:13], v[4:5]
	v_fma_f64 v[10:11], v[88:89], s[2:3], v[10:11]
	v_add_f64 v[140:141], v[106:107], v[140:141]
	v_add_f64 v[38:39], v[38:39], v[42:43]
	;; [unrolled: 1-line block ×5, first 2 shown]
	v_fma_f64 v[38:39], v[38:39], -0.5, v[12:13]
	v_fma_f64 v[92:93], v[40:41], s[18:19], v[38:39]
	v_fma_f64 v[38:39], v[40:41], s[16:17], v[38:39]
	v_fma_f64 v[92:93], v[138:139], s[20:21], v[92:93]
	v_fma_f64 v[38:39], v[138:139], s[14:15], v[38:39]
	v_fma_f64 v[106:107], v[140:141], s[2:3], v[92:93]
	v_fma_f64 v[92:93], v[140:141], s[2:3], v[38:39]
	v_add_f64 v[38:39], v[4:5], v[110:111]
	v_add_f64 v[4:5], v[42:43], -v[4:5]
	v_add_f64 v[42:43], v[46:47], -v[110:111]
	;; [unrolled: 1-line block ×4, first 2 shown]
	v_fma_f64 v[12:13], v[38:39], -0.5, v[12:13]
	v_add_f64 v[4:5], v[4:5], v[42:43]
	v_add_f64 v[42:43], v[114:115], -v[116:117]
	v_fma_f64 v[38:39], v[138:139], s[16:17], v[12:13]
	v_fma_f64 v[12:13], v[138:139], s[18:19], v[12:13]
	v_add_f64 v[42:43], v[42:43], v[140:141]
	v_add_f64 v[140:141], v[116:117], -v[114:115]
	v_fma_f64 v[38:39], v[40:41], s[20:21], v[38:39]
	v_fma_f64 v[12:13], v[40:41], s[14:15], v[12:13]
	v_add_f64 v[40:41], v[44:45], -v[112:113]
	v_add_f64 v[140:141], v[140:141], v[147:148]
	v_fma_f64 v[110:111], v[4:5], s[2:3], v[38:39]
	v_fma_f64 v[12:13], v[4:5], s[2:3], v[12:13]
	v_add_f64 v[4:5], v[6:7], v[114:115]
	v_add_f64 v[4:5], v[4:5], v[116:117]
	;; [unrolled: 1-line block ×5, first 2 shown]
	v_add_f64 v[116:117], v[116:117], -v[118:119]
	v_add_f64 v[118:119], v[44:45], -v[48:49]
	v_fma_f64 v[38:39], v[4:5], -0.5, v[6:7]
	v_fma_f64 v[4:5], v[40:41], s[16:17], v[38:39]
	v_fma_f64 v[38:39], v[40:41], s[18:19], v[38:39]
	;; [unrolled: 1-line block ×6, first 2 shown]
	v_add_f64 v[42:43], v[114:115], v[136:137]
	v_add_f64 v[114:115], v[114:115], -v[136:137]
	v_add_f64 v[136:137], v[112:113], -v[94:95]
	v_fma_f64 v[6:7], v[42:43], -0.5, v[6:7]
	v_add_f64 v[118:119], v[118:119], v[136:137]
	v_fma_f64 v[42:43], v[46:47], s[18:19], v[6:7]
	v_fma_f64 v[6:7], v[46:47], s[16:17], v[6:7]
	;; [unrolled: 1-line block ×6, first 2 shown]
	v_add_f64 v[6:7], v[8:9], v[44:45]
	v_add_f64 v[6:7], v[6:7], v[48:49]
	;; [unrolled: 1-line block ×5, first 2 shown]
	v_fma_f64 v[40:41], v[6:7], -0.5, v[8:9]
	v_fma_f64 v[6:7], v[114:115], s[18:19], v[40:41]
	v_fma_f64 v[40:41], v[114:115], s[16:17], v[40:41]
	;; [unrolled: 1-line block ×6, first 2 shown]
	v_add_f64 v[118:119], v[44:45], v[112:113]
	v_add_f64 v[44:45], v[48:49], -v[44:45]
	v_add_f64 v[48:49], v[94:95], -v[112:113]
	v_fma_f64 v[8:9], v[118:119], -0.5, v[8:9]
	v_add_f64 v[48:49], v[44:45], v[48:49]
	v_fma_f64 v[118:119], v[116:117], s[16:17], v[8:9]
	v_fma_f64 v[8:9], v[116:117], s[18:19], v[8:9]
	;; [unrolled: 1-line block ×6, first 2 shown]
	v_lshrrev_b32_e32 v8, 3, v159
	v_mul_u32_u24_e32 v8, 40, v8
	v_or_b32_e32 v8, v8, v142
	v_lshlrev_b32_e32 v8, 4, v8
	ds_write_b128 v8, v[18:21]
	ds_write_b128 v8, v[26:29] offset:128
	ds_write_b128 v8, v[34:37] offset:256
	ds_write_b128 v8, v[30:33] offset:384
	buffer_store_dword v8, off, s[36:39], 0 offset:576 ; 4-byte Folded Spill
	ds_write_b128 v8, v[22:25] offset:512
	v_lshrrev_b32_e32 v8, 3, v145
	v_mul_u32_u24_e32 v8, 40, v8
	v_or_b32_e32 v8, v8, v142
	v_lshlrev_b32_e32 v8, 4, v8
	ds_write_b128 v8, v[50:53]
	ds_write_b128 v8, v[58:61] offset:128
	ds_write_b128 v8, v[66:69] offset:256
	ds_write_b128 v8, v[62:65] offset:384
	buffer_store_dword v8, off, s[36:39], 0 offset:580 ; 4-byte Folded Spill
	ds_write_b128 v8, v[54:57] offset:512
	;; [unrolled: 10-line block ×5, first 2 shown]
	s_waitcnt lgkmcnt(0)
	; wave barrier
	s_waitcnt lgkmcnt(0)
	ds_read_b128 v[16:19], v184
	ds_read_b128 v[136:139], v184 offset:3200
	ds_read_b128 v[116:119], v184 offset:6400
	;; [unrolled: 1-line block ×20, first 2 shown]
	v_cmp_gt_u16_e64 s[2:3], 32, v159
                                        ; implicit-def: $vgpr20_vgpr21
                                        ; implicit-def: $vgpr24_vgpr25
	s_and_saveexec_b64 s[14:15], s[2:3]
	s_cbranch_execz .LBB0_17
; %bb.16:
	ds_read_b128 v[4:7], v184 offset:2688
	ds_read_b128 v[42:45], v184 offset:5888
	;; [unrolled: 1-line block ×7, first 2 shown]
.LBB0_17:
	s_or_b64 exec, exec, s[14:15]
	v_subrev_u32_e32 v36, 40, v159
	v_cmp_gt_u16_e32 vcc, 40, v159
	v_cndmask_b32_e32 v147, v36, v159, vcc
	v_mul_i32_i24_e32 v36, 0x60, v147
	v_mul_hi_i32_i24_e32 v37, 0x60, v147
	v_add_co_u32_e32 v36, vcc, s4, v36
	v_mov_b32_e32 v94, s5
	v_addc_co_u32_e32 v37, vcc, v94, v37, vcc
	global_load_dwordx4 v[140:143], v[36:37], off offset:656
	global_load_dwordx4 v[148:151], v[36:37], off offset:640
	;; [unrolled: 1-line block ×4, first 2 shown]
	s_movk_i32 s15, 0xcd
	s_movk_i32 s14, 0x60
	s_mov_b32 s20, 0xe976ee23
	s_mov_b32 s18, 0x429ad128
	;; [unrolled: 1-line block ×16, first 2 shown]
	v_cmp_lt_u16_e32 vcc, 39, v159
	s_waitcnt vmcnt(0) lgkmcnt(14)
	v_mul_f64 v[94:95], v[138:139], v[163:164]
	v_fma_f64 v[94:95], v[136:137], v[161:162], -v[94:95]
	v_mul_f64 v[136:137], v[136:137], v[163:164]
	buffer_store_dword v161, off, s[36:39], 0 offset:660 ; 4-byte Folded Spill
	s_nop 0
	buffer_store_dword v162, off, s[36:39], 0 offset:664 ; 4-byte Folded Spill
	buffer_store_dword v163, off, s[36:39], 0 offset:668 ; 4-byte Folded Spill
	;; [unrolled: 1-line block ×3, first 2 shown]
	v_fma_f64 v[138:139], v[138:139], v[161:162], v[136:137]
	v_mul_f64 v[136:137], v[118:119], v[154:155]
	v_fma_f64 v[136:137], v[116:117], v[152:153], -v[136:137]
	v_mul_f64 v[116:117], v[116:117], v[154:155]
	buffer_store_dword v152, off, s[36:39], 0 offset:644 ; 4-byte Folded Spill
	s_nop 0
	buffer_store_dword v153, off, s[36:39], 0 offset:648 ; 4-byte Folded Spill
	buffer_store_dword v154, off, s[36:39], 0 offset:652 ; 4-byte Folded Spill
	;; [unrolled: 1-line block ×3, first 2 shown]
	v_fma_f64 v[118:119], v[118:119], v[152:153], v[116:117]
	v_mul_f64 v[116:117], v[114:115], v[150:151]
	v_mov_b32_e32 v154, s5
	v_mov_b32_e32 v153, s4
	v_fma_f64 v[116:117], v[112:113], v[148:149], -v[116:117]
	v_mul_f64 v[112:113], v[112:113], v[150:151]
	buffer_store_dword v148, off, s[36:39], 0 offset:628 ; 4-byte Folded Spill
	s_nop 0
	buffer_store_dword v149, off, s[36:39], 0 offset:632 ; 4-byte Folded Spill
	buffer_store_dword v150, off, s[36:39], 0 offset:636 ; 4-byte Folded Spill
	;; [unrolled: 1-line block ×3, first 2 shown]
	v_fma_f64 v[112:113], v[114:115], v[148:149], v[112:113]
	v_mul_f64 v[114:115], v[110:111], v[142:143]
	v_fma_f64 v[114:115], v[108:109], v[140:141], -v[114:115]
	v_mul_f64 v[108:109], v[108:109], v[142:143]
	buffer_store_dword v140, off, s[36:39], 0 offset:596 ; 4-byte Folded Spill
	s_nop 0
	buffer_store_dword v141, off, s[36:39], 0 offset:600 ; 4-byte Folded Spill
	buffer_store_dword v142, off, s[36:39], 0 offset:604 ; 4-byte Folded Spill
	;; [unrolled: 1-line block ×3, first 2 shown]
	v_fma_f64 v[108:109], v[110:111], v[140:141], v[108:109]
	global_load_dwordx4 v[148:151], v[36:37], off offset:688
	global_load_dwordx4 v[140:143], v[36:37], off offset:672
	s_waitcnt vmcnt(0)
	v_mul_f64 v[36:37], v[106:107], v[142:143]
	v_fma_f64 v[110:111], v[104:105], v[140:141], -v[36:37]
	v_mul_f64 v[36:37], v[104:105], v[142:143]
	buffer_store_dword v140, off, s[36:39], 0 offset:692 ; 4-byte Folded Spill
	s_nop 0
	buffer_store_dword v141, off, s[36:39], 0 offset:696 ; 4-byte Folded Spill
	buffer_store_dword v142, off, s[36:39], 0 offset:700 ; 4-byte Folded Spill
	;; [unrolled: 1-line block ×3, first 2 shown]
	v_fma_f64 v[106:107], v[106:107], v[140:141], v[36:37]
	v_mul_f64 v[36:37], v[92:93], v[150:151]
	v_fma_f64 v[140:141], v[90:91], v[148:149], -v[36:37]
	v_mul_f64 v[36:37], v[90:91], v[150:151]
	buffer_store_dword v148, off, s[36:39], 0 offset:612 ; 4-byte Folded Spill
	s_nop 0
	buffer_store_dword v149, off, s[36:39], 0 offset:616 ; 4-byte Folded Spill
	buffer_store_dword v150, off, s[36:39], 0 offset:620 ; 4-byte Folded Spill
	;; [unrolled: 1-line block ×3, first 2 shown]
	v_fma_f64 v[142:143], v[92:93], v[148:149], v[36:37]
	v_mul_lo_u16_sdwa v36, v145, s15 dst_sel:DWORD dst_unused:UNUSED_PAD src0_sel:BYTE_0 src1_sel:DWORD
	v_lshrrev_b16_e32 v148, 13, v36
	v_mul_lo_u16_e32 v36, 40, v148
	v_sub_u16_e32 v36, v145, v36
	v_and_b32_e32 v149, 0xff, v36
	v_mad_u64_u32 v[90:91], s[16:17], v149, s14, v[153:154]
	global_load_dwordx4 v[155:158], v[90:91], off offset:656
	global_load_dwordx4 v[161:164], v[90:91], off offset:640
	global_load_dwordx4 v[165:168], v[90:91], off offset:624
	global_load_dwordx4 v[169:172], v[90:91], off offset:608
	s_waitcnt vmcnt(0) lgkmcnt(12)
	v_mul_f64 v[36:37], v[88:89], v[171:172]
	v_fma_f64 v[36:37], v[86:87], v[169:170], -v[36:37]
	v_mul_f64 v[86:87], v[86:87], v[171:172]
	buffer_store_dword v169, off, s[36:39], 0 offset:756 ; 4-byte Folded Spill
	s_nop 0
	buffer_store_dword v170, off, s[36:39], 0 offset:760 ; 4-byte Folded Spill
	buffer_store_dword v171, off, s[36:39], 0 offset:764 ; 4-byte Folded Spill
	buffer_store_dword v172, off, s[36:39], 0 offset:768 ; 4-byte Folded Spill
	v_fma_f64 v[88:89], v[88:89], v[169:170], v[86:87]
	s_waitcnt lgkmcnt(11)
	v_mul_f64 v[86:87], v[84:85], v[167:168]
	v_fma_f64 v[86:87], v[82:83], v[165:166], -v[86:87]
	v_mul_f64 v[82:83], v[82:83], v[167:168]
	buffer_store_dword v165, off, s[36:39], 0 offset:740 ; 4-byte Folded Spill
	s_nop 0
	buffer_store_dword v166, off, s[36:39], 0 offset:744 ; 4-byte Folded Spill
	buffer_store_dword v167, off, s[36:39], 0 offset:748 ; 4-byte Folded Spill
	buffer_store_dword v168, off, s[36:39], 0 offset:752 ; 4-byte Folded Spill
	v_fma_f64 v[84:85], v[84:85], v[165:166], v[82:83]
	s_waitcnt lgkmcnt(10)
	;; [unrolled: 10-line block ×3, first 2 shown]
	v_mul_f64 v[80:81], v[76:77], v[157:158]
	v_fma_f64 v[80:81], v[74:75], v[155:156], -v[80:81]
	v_mul_f64 v[74:75], v[74:75], v[157:158]
	buffer_store_dword v155, off, s[36:39], 0 offset:676 ; 4-byte Folded Spill
	s_nop 0
	buffer_store_dword v156, off, s[36:39], 0 offset:680 ; 4-byte Folded Spill
	buffer_store_dword v157, off, s[36:39], 0 offset:684 ; 4-byte Folded Spill
	;; [unrolled: 1-line block ×3, first 2 shown]
	v_fma_f64 v[74:75], v[76:77], v[155:156], v[74:75]
	global_load_dwordx4 v[155:158], v[90:91], off offset:688
	s_nop 0
	global_load_dwordx4 v[90:93], v[90:91], off offset:672
	s_waitcnt vmcnt(0) lgkmcnt(8)
	v_mul_f64 v[76:77], v[72:73], v[92:93]
	v_fma_f64 v[76:77], v[70:71], v[90:91], -v[76:77]
	v_mul_f64 v[70:71], v[70:71], v[92:93]
	buffer_store_dword v90, off, s[36:39], 0 offset:788 ; 4-byte Folded Spill
	s_nop 0
	buffer_store_dword v91, off, s[36:39], 0 offset:792 ; 4-byte Folded Spill
	buffer_store_dword v92, off, s[36:39], 0 offset:796 ; 4-byte Folded Spill
	;; [unrolled: 1-line block ×3, first 2 shown]
	v_fma_f64 v[90:91], v[72:73], v[90:91], v[70:71]
	s_waitcnt lgkmcnt(7)
	v_mul_f64 v[70:71], v[68:69], v[157:158]
	v_fma_f64 v[92:93], v[66:67], v[155:156], -v[70:71]
	v_mul_f64 v[66:67], v[66:67], v[157:158]
	buffer_store_dword v155, off, s[36:39], 0 offset:724 ; 4-byte Folded Spill
	s_nop 0
	buffer_store_dword v156, off, s[36:39], 0 offset:728 ; 4-byte Folded Spill
	buffer_store_dword v157, off, s[36:39], 0 offset:732 ; 4-byte Folded Spill
	;; [unrolled: 1-line block ×3, first 2 shown]
	v_fma_f64 v[104:105], v[68:69], v[155:156], v[66:67]
	v_mul_lo_u16_sdwa v66, v144, s15 dst_sel:DWORD dst_unused:UNUSED_PAD src0_sel:BYTE_0 src1_sel:DWORD
	v_lshrrev_b16_e32 v150, 13, v66
	v_mul_lo_u16_e32 v66, 40, v150
	v_sub_u16_e32 v66, v144, v66
	v_and_b32_e32 v151, 0xff, v66
	v_mad_u64_u32 v[68:69], s[16:17], v151, s14, v[153:154]
	global_load_dwordx4 v[70:73], v[68:69], off offset:656
	global_load_dwordx4 v[196:199], v[68:69], off offset:640
	;; [unrolled: 1-line block ×4, first 2 shown]
	s_mov_b32 s16, 0x37e14327
	s_mov_b32 s17, 0x3fe948f6
	s_waitcnt vmcnt(0) lgkmcnt(5)
	v_mul_f64 v[66:67], v[64:65], v[214:215]
	v_fma_f64 v[66:67], v[62:63], v[212:213], -v[66:67]
	v_mul_f64 v[62:63], v[62:63], v[214:215]
	v_fma_f64 v[64:65], v[64:65], v[212:213], v[62:63]
	s_waitcnt lgkmcnt(4)
	v_mul_f64 v[62:63], v[60:61], v[206:207]
	v_fma_f64 v[62:63], v[58:59], v[204:205], -v[62:63]
	v_mul_f64 v[58:59], v[58:59], v[206:207]
	v_fma_f64 v[60:61], v[60:61], v[204:205], v[58:59]
	s_waitcnt lgkmcnt(3)
	v_mul_f64 v[58:59], v[56:57], v[198:199]
	v_fma_f64 v[58:59], v[54:55], v[196:197], -v[58:59]
	v_mul_f64 v[54:55], v[54:55], v[198:199]
	v_fma_f64 v[54:55], v[56:57], v[196:197], v[54:55]
	s_waitcnt lgkmcnt(2)
	v_mul_f64 v[56:57], v[52:53], v[72:73]
	v_fma_f64 v[56:57], v[50:51], v[70:71], -v[56:57]
	v_mul_f64 v[50:51], v[50:51], v[72:73]
	buffer_store_dword v70, off, s[36:39], 0 offset:772 ; 4-byte Folded Spill
	s_nop 0
	buffer_store_dword v71, off, s[36:39], 0 offset:776 ; 4-byte Folded Spill
	buffer_store_dword v72, off, s[36:39], 0 offset:780 ; 4-byte Folded Spill
	buffer_store_dword v73, off, s[36:39], 0 offset:784 ; 4-byte Folded Spill
	global_load_dwordx4 v[200:203], v[68:69], off offset:688
	global_load_dwordx4 v[208:211], v[68:69], off offset:672
	v_fma_f64 v[50:51], v[52:53], v[70:71], v[50:51]
	s_waitcnt vmcnt(0) lgkmcnt(1)
	v_mul_f64 v[52:53], v[34:35], v[210:211]
	v_fma_f64 v[52:53], v[32:33], v[208:209], -v[52:53]
	v_mul_f64 v[32:33], v[32:33], v[210:211]
	v_fma_f64 v[68:69], v[34:35], v[208:209], v[32:33]
	s_waitcnt lgkmcnt(0)
	v_mul_f64 v[32:33], v[30:31], v[202:203]
	v_fma_f64 v[70:71], v[28:29], v[200:201], -v[32:33]
	v_mul_f64 v[28:29], v[28:29], v[202:203]
	v_fma_f64 v[72:73], v[30:31], v[200:201], v[28:29]
	v_mul_lo_u16_sdwa v28, v146, s15 dst_sel:DWORD dst_unused:UNUSED_PAD src0_sel:BYTE_0 src1_sel:DWORD
	v_lshrrev_b16_e32 v28, 13, v28
	v_mul_lo_u16_e32 v28, 40, v28
	v_sub_u16_e32 v28, v146, v28
	v_and_b32_e32 v152, 0xff, v28
	v_mad_u64_u32 v[153:154], s[14:15], v152, s14, v[153:154]
	buffer_store_dword v28, off, s[36:39], 0 offset:820 ; 4-byte Folded Spill
	global_load_dwordx4 v[155:158], v[153:154], off offset:656
	global_load_dwordx4 v[161:164], v[153:154], off offset:640
	;; [unrolled: 1-line block ×4, first 2 shown]
	s_mov_b32 s14, 0x36b3c0b5
	s_mov_b32 s15, 0x3fac98ee
	s_waitcnt vmcnt(0)
	v_mul_f64 v[28:29], v[44:45], v[34:35]
	v_mul_f64 v[30:31], v[42:43], v[34:35]
	v_fma_f64 v[28:29], v[42:43], v[32:33], -v[28:29]
	buffer_store_dword v32, off, s[36:39], 0 offset:872 ; 4-byte Folded Spill
	s_nop 0
	buffer_store_dword v33, off, s[36:39], 0 offset:876 ; 4-byte Folded Spill
	buffer_store_dword v34, off, s[36:39], 0 offset:880 ; 4-byte Folded Spill
	;; [unrolled: 1-line block ×3, first 2 shown]
	v_fma_f64 v[34:35], v[44:45], v[32:33], v[30:31]
	v_mul_f64 v[30:31], v[48:49], v[167:168]
	v_mul_f64 v[32:33], v[46:47], v[167:168]
	v_fma_f64 v[30:31], v[46:47], v[165:166], -v[30:31]
	buffer_store_dword v165, off, s[36:39], 0 offset:856 ; 4-byte Folded Spill
	s_nop 0
	buffer_store_dword v166, off, s[36:39], 0 offset:860 ; 4-byte Folded Spill
	buffer_store_dword v167, off, s[36:39], 0 offset:864 ; 4-byte Folded Spill
	;; [unrolled: 1-line block ×3, first 2 shown]
	v_fma_f64 v[42:43], v[48:49], v[165:166], v[32:33]
	v_mul_f64 v[32:33], v[40:41], v[163:164]
	v_add_f64 v[48:49], v[138:139], -v[142:143]
	v_fma_f64 v[32:33], v[38:39], v[161:162], -v[32:33]
	v_mul_f64 v[38:39], v[38:39], v[163:164]
	buffer_store_dword v161, off, s[36:39], 0 offset:840 ; 4-byte Folded Spill
	s_nop 0
	buffer_store_dword v162, off, s[36:39], 0 offset:844 ; 4-byte Folded Spill
	buffer_store_dword v163, off, s[36:39], 0 offset:848 ; 4-byte Folded Spill
	;; [unrolled: 1-line block ×3, first 2 shown]
	v_fma_f64 v[38:39], v[40:41], v[161:162], v[38:39]
	v_mul_f64 v[40:41], v[2:3], v[157:158]
	v_fma_f64 v[40:41], v[0:1], v[155:156], -v[40:41]
	v_mul_f64 v[0:1], v[0:1], v[157:158]
	buffer_store_dword v155, off, s[36:39], 0 offset:824 ; 4-byte Folded Spill
	s_nop 0
	buffer_store_dword v156, off, s[36:39], 0 offset:828 ; 4-byte Folded Spill
	buffer_store_dword v157, off, s[36:39], 0 offset:832 ; 4-byte Folded Spill
	buffer_store_dword v158, off, s[36:39], 0 offset:836 ; 4-byte Folded Spill
	v_fma_f64 v[44:45], v[2:3], v[155:156], v[0:1]
	global_load_dwordx4 v[155:158], v[153:154], off offset:688
	global_load_dwordx4 v[161:164], v[153:154], off offset:672
	v_add_f64 v[2:3], v[138:139], v[142:143]
	v_add_f64 v[138:139], v[118:119], v[106:107]
	v_add_f64 v[106:107], v[118:119], -v[106:107]
	v_add_f64 v[118:119], v[116:117], v[114:115]
	v_add_f64 v[114:115], v[114:115], -v[116:117]
	;; [unrolled: 2-line block ×3, first 2 shown]
	s_waitcnt vmcnt(0)
	v_mul_f64 v[0:1], v[22:23], v[163:164]
	v_fma_f64 v[46:47], v[20:21], v[161:162], -v[0:1]
	v_mul_f64 v[0:1], v[20:21], v[163:164]
	buffer_store_dword v161, off, s[36:39], 0 offset:904 ; 4-byte Folded Spill
	s_nop 0
	buffer_store_dword v162, off, s[36:39], 0 offset:908 ; 4-byte Folded Spill
	buffer_store_dword v163, off, s[36:39], 0 offset:912 ; 4-byte Folded Spill
	;; [unrolled: 1-line block ×3, first 2 shown]
	v_fma_f64 v[20:21], v[22:23], v[161:162], v[0:1]
	v_mul_f64 v[0:1], v[26:27], v[157:158]
	v_fma_f64 v[22:23], v[24:25], v[155:156], -v[0:1]
	v_mul_f64 v[0:1], v[24:25], v[157:158]
	buffer_store_dword v155, off, s[36:39], 0 offset:888 ; 4-byte Folded Spill
	s_nop 0
	buffer_store_dword v156, off, s[36:39], 0 offset:892 ; 4-byte Folded Spill
	buffer_store_dword v157, off, s[36:39], 0 offset:896 ; 4-byte Folded Spill
	;; [unrolled: 1-line block ×3, first 2 shown]
	v_fma_f64 v[24:25], v[26:27], v[155:156], v[0:1]
	v_add_f64 v[0:1], v[94:95], v[140:141]
	v_add_f64 v[26:27], v[94:95], -v[140:141]
	v_add_f64 v[94:95], v[136:137], v[110:111]
	v_add_f64 v[110:111], v[136:137], -v[110:111]
	v_add_f64 v[136:137], v[112:113], v[108:109]
	v_add_f64 v[108:109], v[108:109], -v[112:113]
	v_add_f64 v[153:154], v[0:1], -v[118:119]
	v_add_f64 v[112:113], v[94:95], v[0:1]
	v_add_f64 v[140:141], v[94:95], -v[0:1]
	v_add_f64 v[155:156], v[2:3], -v[136:137]
	;; [unrolled: 1-line block ×4, first 2 shown]
	v_add_f64 v[0:1], v[114:115], v[110:111]
	v_add_f64 v[2:3], v[108:109], v[106:107]
	v_add_f64 v[157:158], v[114:115], -v[110:111]
	v_add_f64 v[161:162], v[108:109], -v[106:107]
	;; [unrolled: 1-line block ×4, first 2 shown]
	v_add_f64 v[112:113], v[118:119], v[112:113]
	v_add_f64 v[116:117], v[136:137], v[116:117]
	v_add_f64 v[114:115], v[26:27], -v[114:115]
	v_add_f64 v[108:109], v[48:49], -v[108:109]
	v_add_f64 v[26:27], v[0:1], v[26:27]
	v_add_f64 v[48:49], v[2:3], v[48:49]
	v_mul_f64 v[118:119], v[94:95], s[14:15]
	v_mul_f64 v[136:137], v[138:139], s[14:15]
	v_add_f64 v[0:1], v[16:17], v[112:113]
	v_add_f64 v[2:3], v[18:19], v[116:117]
	v_mul_f64 v[16:17], v[153:154], s[16:17]
	v_mul_f64 v[18:19], v[155:156], s[16:17]
	;; [unrolled: 1-line block ×6, first 2 shown]
	v_fma_f64 v[112:113], v[112:113], s[22:23], v[0:1]
	v_fma_f64 v[116:117], v[116:117], s[22:23], v[2:3]
	;; [unrolled: 1-line block ×4, first 2 shown]
	v_fma_f64 v[118:119], v[140:141], s[24:25], -v[118:119]
	v_fma_f64 v[136:137], v[142:143], s[24:25], -v[136:137]
	;; [unrolled: 1-line block ×4, first 2 shown]
	v_fma_f64 v[140:141], v[114:115], s[30:31], v[153:154]
	v_fma_f64 v[142:143], v[108:109], s[30:31], v[155:156]
	v_fma_f64 v[110:111], v[110:111], s[18:19], -v[153:154]
	v_fma_f64 v[106:107], v[106:107], s[18:19], -v[155:156]
	;; [unrolled: 1-line block ×4, first 2 shown]
	v_add_f64 v[155:156], v[138:139], v[116:117]
	v_add_f64 v[138:139], v[136:137], v[116:117]
	;; [unrolled: 1-line block ×4, first 2 shown]
	v_fma_f64 v[157:158], v[26:27], s[26:27], v[140:141]
	v_fma_f64 v[153:154], v[48:49], s[26:27], v[142:143]
	;; [unrolled: 1-line block ×6, first 2 shown]
	v_add_f64 v[94:95], v[94:95], v[112:113]
	v_add_f64 v[118:119], v[118:119], v[112:113]
	v_add_f64 v[108:109], v[155:156], -v[157:158]
	v_add_f64 v[155:156], v[157:158], v[155:156]
	v_add_f64 v[116:117], v[140:141], v[138:139]
	v_add_f64 v[138:139], v[138:139], -v[140:141]
	v_add_f64 v[112:113], v[18:19], -v[26:27]
	v_add_f64 v[110:111], v[48:49], v[16:17]
	v_add_f64 v[140:141], v[16:17], -v[48:49]
	v_add_f64 v[142:143], v[26:27], v[18:19]
	v_add_f64 v[16:17], v[36:37], v[92:93]
	;; [unrolled: 1-line block ×3, first 2 shown]
	v_add_f64 v[26:27], v[36:37], -v[92:93]
	v_add_f64 v[36:37], v[88:89], -v[104:105]
	v_add_f64 v[48:49], v[86:87], v[76:77]
	v_add_f64 v[88:89], v[84:85], v[90:91]
	v_add_f64 v[76:77], v[86:87], -v[76:77]
	v_add_f64 v[84:85], v[84:85], -v[90:91]
	v_add_f64 v[86:87], v[82:83], v[80:81]
	v_add_f64 v[90:91], v[78:79], v[74:75]
	;; [unrolled: 4-line block ×3, first 2 shown]
	v_add_f64 v[106:107], v[153:154], v[94:95]
	v_add_f64 v[114:115], v[118:119], -v[136:137]
	v_add_f64 v[136:137], v[136:137], v[118:119]
	v_add_f64 v[153:154], v[94:95], -v[153:154]
	v_add_f64 v[92:93], v[48:49], -v[16:17]
	v_add_f64 v[94:95], v[88:89], -v[18:19]
	v_add_f64 v[16:17], v[16:17], -v[86:87]
	v_add_f64 v[18:19], v[18:19], -v[90:91]
	v_add_f64 v[48:49], v[86:87], -v[48:49]
	v_add_f64 v[88:89], v[90:91], -v[88:89]
	v_add_f64 v[104:105], v[80:81], v[76:77]
	v_add_f64 v[118:119], v[74:75], v[84:85]
	v_add_f64 v[157:158], v[80:81], -v[76:77]
	v_add_f64 v[161:162], v[74:75], -v[84:85]
	;; [unrolled: 1-line block ×4, first 2 shown]
	v_add_f64 v[78:79], v[86:87], v[78:79]
	v_add_f64 v[82:83], v[90:91], v[82:83]
	v_add_f64 v[80:81], v[26:27], -v[80:81]
	v_add_f64 v[163:164], v[36:37], -v[74:75]
	v_add_f64 v[26:27], v[104:105], v[26:27]
	v_add_f64 v[36:37], v[118:119], v[36:37]
	v_mul_f64 v[86:87], v[157:158], s[20:21]
	v_mul_f64 v[90:91], v[161:162], s[20:21]
	v_add_f64 v[74:75], v[12:13], v[78:79]
	v_add_f64 v[76:77], v[14:15], v[82:83]
	v_mul_f64 v[12:13], v[16:17], s[16:17]
	v_mul_f64 v[14:15], v[18:19], s[16:17]
	;; [unrolled: 1-line block ×6, first 2 shown]
	v_fma_f64 v[78:79], v[78:79], s[22:23], v[74:75]
	v_fma_f64 v[82:83], v[82:83], s[22:23], v[76:77]
	;; [unrolled: 1-line block ×4, first 2 shown]
	v_fma_f64 v[16:17], v[92:93], s[24:25], -v[16:17]
	v_fma_f64 v[18:19], v[94:95], s[24:25], -v[18:19]
	;; [unrolled: 1-line block ×4, first 2 shown]
	v_fma_f64 v[92:93], v[80:81], s[30:31], v[86:87]
	v_fma_f64 v[94:95], v[163:164], s[30:31], v[90:91]
	v_fma_f64 v[86:87], v[165:166], s[18:19], -v[86:87]
	v_fma_f64 v[84:85], v[84:85], s[18:19], -v[90:91]
	;; [unrolled: 1-line block ×4, first 2 shown]
	v_add_f64 v[12:13], v[12:13], v[78:79]
	v_add_f64 v[14:15], v[14:15], v[82:83]
	v_fma_f64 v[118:119], v[26:27], s[26:27], v[92:93]
	v_fma_f64 v[94:95], v[36:37], s[26:27], v[94:95]
	;; [unrolled: 1-line block ×6, first 2 shown]
	v_add_f64 v[48:49], v[48:49], v[78:79]
	v_add_f64 v[104:105], v[88:89], v[82:83]
	;; [unrolled: 1-line block ×4, first 2 shown]
	v_add_f64 v[84:85], v[14:15], -v[26:27]
	v_add_f64 v[82:83], v[36:37], v[12:13]
	v_add_f64 v[161:162], v[12:13], -v[36:37]
	v_add_f64 v[163:164], v[26:27], v[14:15]
	v_add_f64 v[12:13], v[66:67], v[70:71]
	;; [unrolled: 1-line block ×6, first 2 shown]
	v_add_f64 v[86:87], v[16:17], -v[157:158]
	v_add_f64 v[88:89], v[92:93], v[18:19]
	v_add_f64 v[90:91], v[157:158], v[16:17]
	v_add_f64 v[92:93], v[18:19], -v[92:93]
	v_add_f64 v[165:166], v[48:49], -v[94:95]
	;; [unrolled: 1-line block ×6, first 2 shown]
	v_add_f64 v[60:61], v[58:59], v[56:57]
	v_add_f64 v[62:63], v[54:55], v[50:51]
	v_add_f64 v[56:57], v[56:57], -v[58:59]
	v_add_f64 v[50:51], v[50:51], -v[54:55]
	v_add_f64 v[54:55], v[26:27], v[12:13]
	v_add_f64 v[58:59], v[36:37], v[14:15]
	v_add_f64 v[80:81], v[104:105], -v[118:119]
	v_add_f64 v[167:168], v[118:119], v[104:105]
	v_add_f64 v[64:65], v[26:27], -v[12:13]
	v_add_f64 v[66:67], v[36:37], -v[14:15]
	;; [unrolled: 1-line block ×6, first 2 shown]
	v_add_f64 v[68:69], v[56:57], v[48:49]
	v_add_f64 v[70:71], v[50:51], v[52:53]
	v_add_f64 v[72:73], v[56:57], -v[48:49]
	v_add_f64 v[94:95], v[50:51], -v[52:53]
	;; [unrolled: 1-line block ×4, first 2 shown]
	v_add_f64 v[60:61], v[60:61], v[54:55]
	v_add_f64 v[58:59], v[62:63], v[58:59]
	v_add_f64 v[56:57], v[16:17], -v[56:57]
	v_add_f64 v[50:51], v[18:19], -v[50:51]
	v_add_f64 v[16:17], v[68:69], v[16:17]
	v_add_f64 v[18:19], v[70:71], v[18:19]
	v_mul_f64 v[62:63], v[72:73], s[20:21]
	v_mul_f64 v[68:69], v[94:95], s[20:21]
	v_add_f64 v[52:53], v[8:9], v[60:61]
	v_add_f64 v[54:55], v[10:11], v[58:59]
	v_mul_f64 v[8:9], v[12:13], s[16:17]
	v_mul_f64 v[10:11], v[14:15], s[16:17]
	;; [unrolled: 1-line block ×6, first 2 shown]
	v_fma_f64 v[60:61], v[60:61], s[22:23], v[52:53]
	v_fma_f64 v[58:59], v[58:59], s[22:23], v[54:55]
	;; [unrolled: 1-line block ×4, first 2 shown]
	v_fma_f64 v[12:13], v[64:65], s[24:25], -v[12:13]
	v_fma_f64 v[14:15], v[66:67], s[24:25], -v[14:15]
	;; [unrolled: 1-line block ×4, first 2 shown]
	v_fma_f64 v[64:65], v[56:57], s[30:31], v[62:63]
	v_fma_f64 v[66:67], v[50:51], s[30:31], v[68:69]
	v_fma_f64 v[48:49], v[48:49], s[18:19], -v[62:63]
	v_fma_f64 v[62:63], v[104:105], s[18:19], -v[68:69]
	;; [unrolled: 1-line block ×4, first 2 shown]
	v_add_f64 v[8:9], v[8:9], v[60:61]
	v_add_f64 v[10:11], v[10:11], v[58:59]
	v_fma_f64 v[72:73], v[16:17], s[26:27], v[64:65]
	v_fma_f64 v[94:95], v[18:19], s[26:27], v[66:67]
	;; [unrolled: 1-line block ×6, first 2 shown]
	v_add_f64 v[26:27], v[26:27], v[60:61]
	v_add_f64 v[12:13], v[12:13], v[60:61]
	;; [unrolled: 1-line block ×4, first 2 shown]
	v_add_f64 v[62:63], v[10:11], -v[16:17]
	v_add_f64 v[60:61], v[18:19], v[8:9]
	v_add_f64 v[169:170], v[8:9], -v[18:19]
	v_add_f64 v[171:172], v[16:17], v[10:11]
	v_add_f64 v[8:9], v[28:29], v[22:23]
	;; [unrolled: 1-line block ×6, first 2 shown]
	v_add_f64 v[64:65], v[12:13], -v[68:69]
	v_add_f64 v[66:67], v[48:49], v[14:15]
	v_add_f64 v[68:69], v[68:69], v[12:13]
	v_add_f64 v[70:71], v[14:15], -v[48:49]
	v_add_f64 v[173:174], v[26:27], -v[94:95]
	;; [unrolled: 1-line block ×6, first 2 shown]
	v_add_f64 v[24:25], v[32:33], v[40:41]
	v_add_f64 v[26:27], v[38:39], v[44:45]
	v_add_f64 v[28:29], v[40:41], -v[32:33]
	v_add_f64 v[30:31], v[44:45], -v[38:39]
	v_add_f64 v[32:33], v[16:17], v[8:9]
	v_add_f64 v[34:35], v[18:19], v[10:11]
	v_add_f64 v[58:59], v[36:37], -v[72:73]
	v_add_f64 v[175:176], v[72:73], v[36:37]
	v_add_f64 v[36:37], v[16:17], -v[8:9]
	v_add_f64 v[38:39], v[18:19], -v[10:11]
	;; [unrolled: 1-line block ×6, first 2 shown]
	v_add_f64 v[40:41], v[28:29], v[22:23]
	v_add_f64 v[42:43], v[30:31], v[20:21]
	v_add_f64 v[44:45], v[28:29], -v[22:23]
	v_add_f64 v[46:47], v[30:31], -v[20:21]
	;; [unrolled: 1-line block ×4, first 2 shown]
	v_add_f64 v[24:25], v[24:25], v[32:33]
	v_add_f64 v[26:27], v[26:27], v[34:35]
	v_add_f64 v[28:29], v[12:13], -v[28:29]
	v_add_f64 v[30:31], v[14:15], -v[30:31]
	v_add_f64 v[32:33], v[40:41], v[12:13]
	v_add_f64 v[34:35], v[42:43], v[14:15]
	v_mul_f64 v[8:9], v[8:9], s[16:17]
	v_mul_f64 v[10:11], v[10:11], s[16:17]
	v_add_f64 v[4:5], v[4:5], v[24:25]
	v_add_f64 v[6:7], v[6:7], v[26:27]
	v_mul_f64 v[12:13], v[16:17], s[14:15]
	v_mul_f64 v[14:15], v[18:19], s[14:15]
	;; [unrolled: 1-line block ×6, first 2 shown]
	v_fma_f64 v[48:49], v[24:25], s[22:23], v[4:5]
	v_fma_f64 v[26:27], v[26:27], s[22:23], v[6:7]
	;; [unrolled: 1-line block ×3, first 2 shown]
	v_fma_f64 v[12:13], v[36:37], s[24:25], -v[12:13]
	v_fma_f64 v[24:25], v[38:39], s[24:25], -v[14:15]
	;; [unrolled: 1-line block ×4, first 2 shown]
	v_fma_f64 v[72:73], v[30:31], s[30:31], v[42:43]
	v_fma_f64 v[20:21], v[20:21], s[18:19], -v[42:43]
	v_fma_f64 v[42:43], v[28:29], s[34:35], -v[44:45]
	;; [unrolled: 1-line block ×3, first 2 shown]
	v_fma_f64 v[16:17], v[16:17], s[14:15], v[8:9]
	v_fma_f64 v[50:51], v[28:29], s[30:31], v[40:41]
	v_fma_f64 v[40:41], v[22:23], s[18:19], -v[40:41]
	v_add_f64 v[14:15], v[18:19], v[26:27]
	v_add_f64 v[10:11], v[12:13], v[48:49]
	;; [unrolled: 1-line block ×5, first 2 shown]
	v_fma_f64 v[30:31], v[32:33], s[26:27], v[42:43]
	v_fma_f64 v[26:27], v[34:35], s[26:27], v[44:45]
	v_add_f64 v[8:9], v[16:17], v[48:49]
	v_fma_f64 v[18:19], v[32:33], s[26:27], v[50:51]
	v_fma_f64 v[16:17], v[34:35], s[26:27], v[72:73]
	;; [unrolled: 1-line block ×4, first 2 shown]
	v_add_f64 v[34:35], v[30:31], v[22:23]
	v_add_f64 v[32:33], v[12:13], -v[26:27]
	buffer_store_dword v32, off, s[36:39], 0 offset:4 ; 4-byte Folded Spill
	s_nop 0
	buffer_store_dword v33, off, s[36:39], 0 offset:8 ; 4-byte Folded Spill
	buffer_store_dword v34, off, s[36:39], 0 offset:12 ; 4-byte Folded Spill
	;; [unrolled: 1-line block ×3, first 2 shown]
	v_add_f64 v[32:33], v[8:9], -v[16:17]
	v_add_f64 v[34:35], v[18:19], v[14:15]
	v_add_f64 v[48:49], v[20:21], v[10:11]
	v_add_f64 v[50:51], v[24:25], -v[28:29]
	buffer_store_dword v32, off, s[36:39], 0 offset:20 ; 4-byte Folded Spill
	s_nop 0
	buffer_store_dword v33, off, s[36:39], 0 offset:24 ; 4-byte Folded Spill
	buffer_store_dword v34, off, s[36:39], 0 offset:28 ; 4-byte Folded Spill
	;; [unrolled: 1-line block ×3, first 2 shown]
	v_mov_b32_e32 v32, 0x118
	v_cndmask_b32_e32 v32, 0, v32, vcc
	v_add_lshl_u32 v32, v147, v32, 4
	s_waitcnt lgkmcnt(0)
	; wave barrier
	ds_write_b128 v32, v[0:3]
	ds_write_b128 v32, v[106:109] offset:640
	ds_write_b128 v32, v[110:113] offset:1280
	;; [unrolled: 1-line block ×5, first 2 shown]
	v_mul_u32_u24_e32 v0, 0x118, v148
	v_add_lshl_u32 v0, v0, v149, 4
	buffer_store_dword v32, off, s[36:39], 0 offset:804 ; 4-byte Folded Spill
	ds_write_b128 v32, v[153:156] offset:3840
	ds_write_b128 v0, v[74:77]
	ds_write_b128 v0, v[78:81] offset:640
	ds_write_b128 v0, v[82:85] offset:1280
	;; [unrolled: 1-line block ×5, first 2 shown]
	buffer_store_dword v0, off, s[36:39], 0 offset:808 ; 4-byte Folded Spill
	ds_write_b128 v0, v[165:168] offset:3840
	v_mul_u32_u24_e32 v0, 0x118, v150
	v_add_lshl_u32 v193, v0, v151, 4
	ds_write_b128 v193, v[52:55]
	ds_write_b128 v193, v[56:59] offset:640
	ds_write_b128 v193, v[60:63] offset:1280
	;; [unrolled: 1-line block ×6, first 2 shown]
	s_and_saveexec_b64 s[14:15], s[2:3]
	s_cbranch_execz .LBB0_19
; %bb.18:
	v_add_f64 v[18:19], v[14:15], -v[18:19]
	v_add_f64 v[16:17], v[16:17], v[8:9]
	v_add_f64 v[2:3], v[28:29], v[24:25]
	v_add_f64 v[24:25], v[22:23], -v[30:31]
	v_add_f64 v[22:23], v[26:27], v[12:13]
	v_add_f64 v[0:1], v[10:11], -v[20:21]
	v_lshlrev_b32_e32 v8, 4, v152
	ds_write_b128 v8, v[4:7] offset:17920
	ds_write_b128 v8, v[16:19] offset:18560
	;; [unrolled: 1-line block ×5, first 2 shown]
	buffer_load_dword v0, off, s[36:39], 0 offset:4 ; 4-byte Folded Reload
	buffer_load_dword v1, off, s[36:39], 0 offset:8 ; 4-byte Folded Reload
	buffer_load_dword v2, off, s[36:39], 0 offset:12 ; 4-byte Folded Reload
	buffer_load_dword v3, off, s[36:39], 0 offset:16 ; 4-byte Folded Reload
	s_waitcnt vmcnt(0)
	ds_write_b128 v8, v[0:3] offset:21120
	buffer_load_dword v0, off, s[36:39], 0 offset:20 ; 4-byte Folded Reload
	buffer_load_dword v1, off, s[36:39], 0 offset:24 ; 4-byte Folded Reload
	;; [unrolled: 1-line block ×4, first 2 shown]
	s_waitcnt vmcnt(0)
	ds_write_b128 v8, v[0:3] offset:21760
.LBB0_19:
	s_or_b64 exec, exec, s[14:15]
	v_lshlrev_b32_e32 v88, 6, v159
	v_add_co_u32_e32 v90, vcc, s4, v88
	v_mov_b32_e32 v165, s5
	v_addc_co_u32_e32 v91, vcc, 0, v165, vcc
	s_movk_i32 s5, 0x1160
	v_add_co_u32_e32 v88, vcc, s5, v90
	v_addc_co_u32_e32 v89, vcc, 0, v91, vcc
	s_movk_i32 s22, 0x1000
	v_add_co_u32_e32 v90, vcc, s22, v90
	v_addc_co_u32_e32 v91, vcc, 0, v91, vcc
	s_waitcnt lgkmcnt(0)
	; wave barrier
	s_waitcnt lgkmcnt(0)
	ds_read_b128 v[80:83], v184
	ds_read_b128 v[0:3], v184 offset:4480
	ds_read_b128 v[4:7], v184 offset:8960
	;; [unrolled: 1-line block ×24, first 2 shown]
	global_load_dwordx4 v[224:227], v[90:91], off offset:352
	global_load_dwordx4 v[216:219], v[88:89], off offset:48
	;; [unrolled: 1-line block ×4, first 2 shown]
	v_mov_b32_e32 v189, v159
	s_mov_b32 s16, 0x134454ff
	s_mov_b32 s17, 0x3fee6f0e
	;; [unrolled: 1-line block ×8, first 2 shown]
	s_add_u32 s12, s12, 0x5780
	s_addc_u32 s13, s13, 0
	s_waitcnt vmcnt(3) lgkmcnt(14)
	v_mul_f64 v[88:89], v[2:3], v[226:227]
	v_fma_f64 v[236:237], v[0:1], v[224:225], -v[88:89]
	v_mul_f64 v[0:1], v[0:1], v[226:227]
	v_fma_f64 v[88:89], v[2:3], v[224:225], v[0:1]
	s_waitcnt vmcnt(0)
	v_mul_f64 v[0:1], v[6:7], v[230:231]
	v_fma_f64 v[238:239], v[4:5], v[228:229], -v[0:1]
	v_mul_f64 v[0:1], v[4:5], v[230:231]
	v_fma_f64 v[90:91], v[6:7], v[228:229], v[0:1]
	v_mul_f64 v[0:1], v[10:11], v[222:223]
	v_fma_f64 v[180:181], v[8:9], v[220:221], -v[0:1]
	v_mul_f64 v[0:1], v[8:9], v[222:223]
	v_fma_f64 v[92:93], v[10:11], v[220:221], v[0:1]
	;; [unrolled: 4-line block ×3, first 2 shown]
	v_lshlrev_b32_e32 v0, 6, v145
	v_add_co_u32_e32 v2, vcc, s4, v0
	v_addc_co_u32_e32 v3, vcc, 0, v165, vcc
	v_add_co_u32_e32 v0, vcc, s5, v2
	v_addc_co_u32_e32 v1, vcc, 0, v3, vcc
	v_add_co_u32_e32 v2, vcc, s22, v2
	v_addc_co_u32_e32 v3, vcc, 0, v3, vcc
	global_load_dwordx4 v[248:251], v[2:3], off offset:352
	global_load_dwordx4 v[240:243], v[0:1], off offset:48
	;; [unrolled: 1-line block ×4, first 2 shown]
	v_add_f64 v[185:186], v[232:233], -v[92:93]
	s_waitcnt vmcnt(3)
	v_mul_f64 v[0:1], v[18:19], v[250:251]
	v_fma_f64 v[94:95], v[16:17], v[248:249], -v[0:1]
	v_mul_f64 v[0:1], v[16:17], v[250:251]
	v_fma_f64 v[104:105], v[18:19], v[248:249], v[0:1]
	s_waitcnt vmcnt(0)
	v_mul_f64 v[0:1], v[22:23], v[254:255]
	v_fma_f64 v[116:117], v[20:21], v[252:253], -v[0:1]
	v_mul_f64 v[0:1], v[20:21], v[254:255]
	v_fma_f64 v[106:107], v[22:23], v[252:253], v[0:1]
	v_mul_f64 v[0:1], v[26:27], v[246:247]
	v_fma_f64 v[152:153], v[24:25], v[244:245], -v[0:1]
	v_mul_f64 v[0:1], v[24:25], v[246:247]
	v_fma_f64 v[108:109], v[26:27], v[244:245], v[0:1]
	v_mul_f64 v[0:1], v[30:31], v[242:243]
	v_fma_f64 v[234:235], v[28:29], v[240:241], -v[0:1]
	v_mul_f64 v[0:1], v[28:29], v[242:243]
	v_add_f64 v[187:188], v[234:235], -v[152:153]
	v_fma_f64 v[112:113], v[30:31], v[240:241], v[0:1]
	v_lshlrev_b32_e32 v0, 6, v144
	v_add_co_u32_e32 v0, vcc, s4, v0
	v_addc_co_u32_e32 v1, vcc, 0, v165, vcc
	v_add_co_u32_e32 v12, vcc, s5, v0
	v_addc_co_u32_e32 v13, vcc, 0, v1, vcc
	v_add_co_u32_e32 v0, vcc, s22, v0
	v_addc_co_u32_e32 v1, vcc, 0, v1, vcc
	global_load_dwordx4 v[8:11], v[0:1], off offset:352
	s_nop 0
	global_load_dwordx4 v[0:3], v[12:13], off offset:48
	global_load_dwordx4 v[4:7], v[12:13], off offset:32
	s_nop 0
	global_load_dwordx4 v[12:15], v[12:13], off offset:16
	s_waitcnt vmcnt(3) lgkmcnt(13)
	v_mul_f64 v[16:17], v[34:35], v[10:11]
	v_fma_f64 v[110:111], v[32:33], v[8:9], -v[16:17]
	v_mul_f64 v[16:17], v[32:33], v[10:11]
	v_fma_f64 v[118:119], v[34:35], v[8:9], v[16:17]
	s_waitcnt vmcnt(0) lgkmcnt(12)
	v_mul_f64 v[16:17], v[38:39], v[14:15]
	v_fma_f64 v[114:115], v[36:37], v[12:13], -v[16:17]
	v_mul_f64 v[16:17], v[36:37], v[14:15]
	v_fma_f64 v[136:137], v[38:39], v[12:13], v[16:17]
	s_waitcnt lgkmcnt(11)
	v_mul_f64 v[16:17], v[42:43], v[6:7]
	v_fma_f64 v[144:145], v[40:41], v[4:5], -v[16:17]
	v_mul_f64 v[16:17], v[40:41], v[6:7]
	v_fma_f64 v[138:139], v[42:43], v[4:5], v[16:17]
	s_waitcnt lgkmcnt(10)
	v_mul_f64 v[16:17], v[46:47], v[2:3]
	v_fma_f64 v[148:149], v[44:45], v[0:1], -v[16:17]
	v_mul_f64 v[16:17], v[44:45], v[2:3]
	v_fma_f64 v[140:141], v[46:47], v[0:1], v[16:17]
	v_lshlrev_b32_e32 v16, 6, v146
	v_add_co_u32_e32 v16, vcc, s4, v16
	v_addc_co_u32_e32 v17, vcc, 0, v165, vcc
	v_add_co_u32_e32 v28, vcc, s5, v16
	v_addc_co_u32_e32 v29, vcc, 0, v17, vcc
	;; [unrolled: 2-line block ×3, first 2 shown]
	global_load_dwordx4 v[20:23], v[16:17], off offset:352
	s_nop 0
	global_load_dwordx4 v[16:19], v[28:29], off offset:48
	global_load_dwordx4 v[24:27], v[28:29], off offset:32
	s_nop 0
	global_load_dwordx4 v[28:31], v[28:29], off offset:16
	s_waitcnt vmcnt(3) lgkmcnt(8)
	v_mul_f64 v[32:33], v[156:157], v[22:23]
	v_fma_f64 v[142:143], v[154:155], v[20:21], -v[32:33]
	v_mul_f64 v[32:33], v[154:155], v[22:23]
	v_fma_f64 v[150:151], v[156:157], v[20:21], v[32:33]
	s_waitcnt vmcnt(0) lgkmcnt(7)
	v_mul_f64 v[32:33], v[163:164], v[30:31]
	v_fma_f64 v[146:147], v[161:162], v[28:29], -v[32:33]
	v_mul_f64 v[32:33], v[161:162], v[30:31]
	v_fma_f64 v[154:155], v[163:164], v[28:29], v[32:33]
	s_waitcnt lgkmcnt(6)
	v_mul_f64 v[32:33], v[172:173], v[26:27]
	v_fma_f64 v[168:169], v[170:171], v[24:25], -v[32:33]
	v_mul_f64 v[32:33], v[170:171], v[26:27]
	v_fma_f64 v[156:157], v[172:173], v[24:25], v[32:33]
	s_waitcnt lgkmcnt(5)
	v_mul_f64 v[32:33], v[176:177], v[18:19]
	v_fma_f64 v[170:171], v[174:175], v[16:17], -v[32:33]
	v_mul_f64 v[32:33], v[174:175], v[18:19]
	v_fma_f64 v[158:159], v[176:177], v[16:17], v[32:33]
	v_lshlrev_b32_e32 v32, 6, v160
	v_add_co_u32_e32 v32, vcc, s4, v32
	v_addc_co_u32_e32 v33, vcc, 0, v165, vcc
	v_add_co_u32_e32 v44, vcc, s5, v32
	v_addc_co_u32_e32 v45, vcc, 0, v33, vcc
	;; [unrolled: 2-line block ×3, first 2 shown]
	global_load_dwordx4 v[40:43], v[32:33], off offset:352
	s_nop 0
	global_load_dwordx4 v[32:35], v[44:45], off offset:48
	global_load_dwordx4 v[36:39], v[44:45], off offset:32
	s_nop 0
	global_load_dwordx4 v[44:47], v[44:45], off offset:16
	s_mov_b32 s4, 0x372fe950
	s_mov_b32 s5, 0x3fd3c6ef
	s_waitcnt vmcnt(3) lgkmcnt(3)
	v_mul_f64 v[160:161], v[86:87], v[42:43]
	v_fma_f64 v[172:173], v[84:85], v[40:41], -v[160:161]
	v_mul_f64 v[84:85], v[84:85], v[42:43]
	v_fma_f64 v[160:161], v[86:87], v[40:41], v[84:85]
	s_waitcnt vmcnt(0) lgkmcnt(2)
	v_mul_f64 v[84:85], v[78:79], v[46:47]
	v_add_f64 v[86:87], v[180:181], -v[182:183]
	v_fma_f64 v[174:175], v[76:77], v[44:45], -v[84:85]
	v_mul_f64 v[76:77], v[76:77], v[46:47]
	v_add_f64 v[84:85], v[182:183], -v[180:181]
	v_fma_f64 v[162:163], v[78:79], v[44:45], v[76:77]
	s_waitcnt lgkmcnt(1)
	v_mul_f64 v[76:77], v[74:75], v[38:39]
	v_add_f64 v[78:79], v[90:91], -v[92:93]
	v_fma_f64 v[176:177], v[72:73], v[36:37], -v[76:77]
	v_mul_f64 v[72:73], v[72:73], v[38:39]
	v_add_f64 v[76:77], v[236:237], -v[238:239]
	v_fma_f64 v[164:165], v[74:75], v[36:37], v[72:73]
	s_waitcnt lgkmcnt(0)
	v_mul_f64 v[72:73], v[70:71], v[34:35]
	v_add_f64 v[74:75], v[88:89], -v[232:233]
	v_add_f64 v[84:85], v[76:77], v[84:85]
	v_fma_f64 v[178:179], v[68:69], v[32:33], -v[72:73]
	v_mul_f64 v[68:69], v[68:69], v[34:35]
	v_fma_f64 v[166:167], v[70:71], v[32:33], v[68:69]
	v_add_f64 v[70:71], v[238:239], v[180:181]
	v_add_f64 v[68:69], v[80:81], v[236:237]
	v_fma_f64 v[70:71], v[70:71], -0.5, v[80:81]
	v_add_f64 v[68:69], v[68:69], v[238:239]
	v_fma_f64 v[72:73], v[74:75], s[16:17], v[70:71]
	v_fma_f64 v[70:71], v[74:75], s[18:19], v[70:71]
	v_add_f64 v[68:69], v[68:69], v[180:181]
	v_add_f64 v[180:181], v[238:239], -v[180:181]
	v_fma_f64 v[72:73], v[78:79], s[14:15], v[72:73]
	v_fma_f64 v[70:71], v[78:79], s[20:21], v[70:71]
	v_add_f64 v[68:69], v[68:69], v[182:183]
	v_fma_f64 v[76:77], v[84:85], s[4:5], v[72:73]
	v_fma_f64 v[72:73], v[84:85], s[4:5], v[70:71]
	v_add_f64 v[70:71], v[236:237], v[182:183]
	v_add_f64 v[84:85], v[238:239], -v[236:237]
	v_add_f64 v[182:183], v[236:237], -v[182:183]
	v_fma_f64 v[70:71], v[70:71], -0.5, v[80:81]
	v_add_f64 v[86:87], v[84:85], v[86:87]
	v_fma_f64 v[80:81], v[78:79], s[18:19], v[70:71]
	v_fma_f64 v[70:71], v[78:79], s[16:17], v[70:71]
	;; [unrolled: 1-line block ×4, first 2 shown]
	v_add_f64 v[74:75], v[90:91], v[92:93]
	v_fma_f64 v[84:85], v[86:87], s[4:5], v[80:81]
	v_fma_f64 v[80:81], v[86:87], s[4:5], v[70:71]
	v_fma_f64 v[74:75], v[74:75], -0.5, v[82:83]
	v_add_f64 v[86:87], v[88:89], -v[90:91]
	v_add_f64 v[70:71], v[82:83], v[88:89]
	v_fma_f64 v[78:79], v[182:183], s[18:19], v[74:75]
	v_fma_f64 v[74:75], v[182:183], s[16:17], v[74:75]
	v_add_f64 v[86:87], v[86:87], v[185:186]
	v_add_f64 v[70:71], v[70:71], v[90:91]
	v_add_f64 v[185:186], v[94:95], -v[116:117]
	v_fma_f64 v[78:79], v[180:181], s[20:21], v[78:79]
	v_fma_f64 v[74:75], v[180:181], s[14:15], v[74:75]
	v_add_f64 v[70:71], v[70:71], v[92:93]
	v_add_f64 v[185:186], v[185:186], v[187:188]
	v_add_f64 v[187:188], v[152:153], -v[234:235]
	v_fma_f64 v[78:79], v[86:87], s[4:5], v[78:79]
	v_fma_f64 v[74:75], v[86:87], s[4:5], v[74:75]
	v_add_f64 v[86:87], v[88:89], v[232:233]
	v_add_f64 v[88:89], v[90:91], -v[88:89]
	v_add_f64 v[90:91], v[92:93], -v[232:233]
	v_add_f64 v[70:71], v[70:71], v[232:233]
	v_fma_f64 v[82:83], v[86:87], -0.5, v[82:83]
	v_add_f64 v[88:89], v[88:89], v[90:91]
	v_add_f64 v[90:91], v[116:117], v[152:153]
	v_fma_f64 v[86:87], v[180:181], s[16:17], v[82:83]
	v_fma_f64 v[82:83], v[180:181], s[18:19], v[82:83]
	v_add_f64 v[180:181], v[104:105], -v[112:113]
	v_fma_f64 v[90:91], v[90:91], -0.5, v[64:65]
	v_fma_f64 v[86:87], v[182:183], s[20:21], v[86:87]
	v_fma_f64 v[82:83], v[182:183], s[14:15], v[82:83]
	v_add_f64 v[182:183], v[106:107], -v[108:109]
	v_fma_f64 v[92:93], v[180:181], s[16:17], v[90:91]
	v_fma_f64 v[90:91], v[180:181], s[18:19], v[90:91]
	;; [unrolled: 1-line block ×4, first 2 shown]
	v_add_f64 v[88:89], v[64:65], v[94:95]
	v_fma_f64 v[92:93], v[182:183], s[14:15], v[92:93]
	v_fma_f64 v[90:91], v[182:183], s[20:21], v[90:91]
	v_add_f64 v[88:89], v[88:89], v[116:117]
	v_fma_f64 v[232:233], v[185:186], s[4:5], v[92:93]
	v_fma_f64 v[92:93], v[185:186], s[4:5], v[90:91]
	v_add_f64 v[90:91], v[94:95], v[234:235]
	v_add_f64 v[185:186], v[116:117], -v[94:95]
	v_add_f64 v[116:117], v[116:117], -v[152:153]
	v_add_f64 v[88:89], v[88:89], v[152:153]
	v_add_f64 v[152:153], v[104:105], -v[106:107]
	v_fma_f64 v[64:65], v[90:91], -0.5, v[64:65]
	v_add_f64 v[185:186], v[185:186], v[187:188]
	v_add_f64 v[88:89], v[88:89], v[234:235]
	v_fma_f64 v[90:91], v[182:183], s[18:19], v[64:65]
	v_fma_f64 v[64:65], v[182:183], s[16:17], v[64:65]
	v_add_f64 v[182:183], v[94:95], -v[234:235]
	v_fma_f64 v[90:91], v[180:181], s[14:15], v[90:91]
	v_fma_f64 v[64:65], v[180:181], s[20:21], v[64:65]
	v_add_f64 v[180:181], v[106:107], v[108:109]
	v_fma_f64 v[236:237], v[185:186], s[4:5], v[90:91]
	v_fma_f64 v[64:65], v[185:186], s[4:5], v[64:65]
	v_fma_f64 v[180:181], v[180:181], -0.5, v[66:67]
	v_add_f64 v[185:186], v[112:113], -v[108:109]
	v_add_f64 v[90:91], v[66:67], v[104:105]
	v_fma_f64 v[94:95], v[182:183], s[18:19], v[180:181]
	v_add_f64 v[152:153], v[152:153], v[185:186]
	v_add_f64 v[90:91], v[90:91], v[106:107]
	v_fma_f64 v[94:95], v[116:117], s[20:21], v[94:95]
	v_add_f64 v[90:91], v[90:91], v[108:109]
	v_fma_f64 v[234:235], v[152:153], s[4:5], v[94:95]
	v_fma_f64 v[94:95], v[182:183], s[16:17], v[180:181]
	v_add_f64 v[90:91], v[90:91], v[112:113]
	v_add_f64 v[180:181], v[136:137], -v[138:139]
	v_fma_f64 v[94:95], v[116:117], s[14:15], v[94:95]
	v_fma_f64 v[94:95], v[152:153], s[4:5], v[94:95]
	v_add_f64 v[152:153], v[104:105], v[112:113]
	v_add_f64 v[104:105], v[106:107], -v[104:105]
	v_add_f64 v[106:107], v[108:109], -v[112:113]
	;; [unrolled: 1-line block ×3, first 2 shown]
	v_fma_f64 v[66:67], v[152:153], -0.5, v[66:67]
	v_add_f64 v[104:105], v[104:105], v[106:107]
	v_add_f64 v[106:107], v[114:115], v[144:145]
	v_fma_f64 v[152:153], v[116:117], s[16:17], v[66:67]
	v_fma_f64 v[66:67], v[116:117], s[18:19], v[66:67]
	v_add_f64 v[116:117], v[148:149], -v[144:145]
	v_fma_f64 v[106:107], v[106:107], -0.5, v[60:61]
	v_fma_f64 v[152:153], v[182:183], s[20:21], v[152:153]
	v_fma_f64 v[66:67], v[182:183], s[14:15], v[66:67]
	v_add_f64 v[116:117], v[112:113], v[116:117]
	v_add_f64 v[182:183], v[144:145], -v[148:149]
	v_fma_f64 v[238:239], v[104:105], s[4:5], v[152:153]
	v_add_f64 v[152:153], v[118:119], -v[140:141]
	v_fma_f64 v[66:67], v[104:105], s[4:5], v[66:67]
	v_add_f64 v[104:105], v[60:61], v[110:111]
	v_fma_f64 v[108:109], v[152:153], s[16:17], v[106:107]
	v_fma_f64 v[106:107], v[152:153], s[18:19], v[106:107]
	v_add_f64 v[104:105], v[104:105], v[114:115]
	v_fma_f64 v[108:109], v[180:181], s[14:15], v[108:109]
	v_fma_f64 v[106:107], v[180:181], s[20:21], v[106:107]
	v_add_f64 v[104:105], v[104:105], v[144:145]
	v_add_f64 v[144:145], v[114:115], -v[144:145]
	v_fma_f64 v[112:113], v[116:117], s[4:5], v[108:109]
	v_fma_f64 v[108:109], v[116:117], s[4:5], v[106:107]
	v_add_f64 v[106:107], v[110:111], v[148:149]
	v_add_f64 v[104:105], v[104:105], v[148:149]
	v_add_f64 v[148:149], v[110:111], -v[148:149]
	v_add_f64 v[116:117], v[114:115], -v[110:111]
	v_add_f64 v[114:115], v[118:119], -v[136:137]
	v_fma_f64 v[60:61], v[106:107], -0.5, v[60:61]
	v_add_f64 v[182:183], v[116:117], v[182:183]
	v_fma_f64 v[106:107], v[180:181], s[18:19], v[60:61]
	v_fma_f64 v[60:61], v[180:181], s[16:17], v[60:61]
	v_add_f64 v[180:181], v[140:141], -v[138:139]
	v_fma_f64 v[106:107], v[152:153], s[14:15], v[106:107]
	v_fma_f64 v[60:61], v[152:153], s[20:21], v[60:61]
	v_add_f64 v[152:153], v[136:137], v[138:139]
	v_add_f64 v[180:181], v[114:115], v[180:181]
	v_fma_f64 v[116:117], v[182:183], s[4:5], v[106:107]
	v_add_f64 v[106:107], v[62:63], v[118:119]
	v_fma_f64 v[152:153], v[152:153], -0.5, v[62:63]
	v_fma_f64 v[60:61], v[182:183], s[4:5], v[60:61]
	v_add_f64 v[182:183], v[168:169], -v[170:171]
	v_add_f64 v[106:107], v[106:107], v[136:137]
	v_fma_f64 v[110:111], v[148:149], s[18:19], v[152:153]
	v_add_f64 v[106:107], v[106:107], v[138:139]
	v_fma_f64 v[110:111], v[144:145], s[20:21], v[110:111]
	;; [unrolled: 2-line block ×3, first 2 shown]
	v_fma_f64 v[110:111], v[148:149], s[16:17], v[152:153]
	v_add_f64 v[152:153], v[118:119], v[140:141]
	v_add_f64 v[118:119], v[136:137], -v[118:119]
	v_add_f64 v[136:137], v[138:139], -v[140:141]
	v_add_f64 v[138:139], v[146:147], v[168:169]
	v_fma_f64 v[110:111], v[144:145], s[14:15], v[110:111]
	v_fma_f64 v[62:63], v[152:153], -0.5, v[62:63]
	v_add_f64 v[136:137], v[118:119], v[136:137]
	v_fma_f64 v[138:139], v[138:139], -0.5, v[52:53]
	v_fma_f64 v[110:111], v[180:181], s[4:5], v[110:111]
	v_fma_f64 v[152:153], v[144:145], s[16:17], v[62:63]
	;; [unrolled: 1-line block ×3, first 2 shown]
	v_add_f64 v[180:181], v[154:155], -v[156:157]
	v_add_f64 v[144:145], v[142:143], -v[146:147]
	v_fma_f64 v[152:153], v[148:149], s[20:21], v[152:153]
	v_fma_f64 v[62:63], v[148:149], s[14:15], v[62:63]
	v_add_f64 v[148:149], v[150:151], -v[158:159]
	v_fma_f64 v[118:119], v[136:137], s[4:5], v[152:153]
	v_add_f64 v[152:153], v[170:171], -v[168:169]
	v_fma_f64 v[140:141], v[148:149], s[16:17], v[138:139]
	v_fma_f64 v[138:139], v[148:149], s[18:19], v[138:139]
	;; [unrolled: 1-line block ×3, first 2 shown]
	v_add_f64 v[136:137], v[52:53], v[142:143]
	v_add_f64 v[152:153], v[144:145], v[152:153]
	v_fma_f64 v[140:141], v[180:181], s[14:15], v[140:141]
	v_fma_f64 v[138:139], v[180:181], s[20:21], v[138:139]
	v_add_f64 v[136:137], v[136:137], v[146:147]
	v_fma_f64 v[144:145], v[152:153], s[4:5], v[140:141]
	v_fma_f64 v[140:141], v[152:153], s[4:5], v[138:139]
	v_add_f64 v[138:139], v[142:143], v[170:171]
	v_add_f64 v[152:153], v[146:147], -v[142:143]
	v_add_f64 v[136:137], v[136:137], v[168:169]
	v_add_f64 v[168:169], v[146:147], -v[168:169]
	v_add_f64 v[146:147], v[150:151], -v[154:155]
	v_fma_f64 v[52:53], v[138:139], -0.5, v[52:53]
	v_add_f64 v[182:183], v[152:153], v[182:183]
	v_add_f64 v[136:137], v[136:137], v[170:171]
	v_add_f64 v[170:171], v[142:143], -v[170:171]
	v_fma_f64 v[138:139], v[180:181], s[18:19], v[52:53]
	v_fma_f64 v[52:53], v[180:181], s[16:17], v[52:53]
	v_add_f64 v[180:181], v[158:159], -v[156:157]
	v_fma_f64 v[138:139], v[148:149], s[14:15], v[138:139]
	v_fma_f64 v[52:53], v[148:149], s[20:21], v[52:53]
	v_add_f64 v[180:181], v[146:147], v[180:181]
	v_fma_f64 v[152:153], v[182:183], s[4:5], v[138:139]
	v_fma_f64 v[148:149], v[182:183], s[4:5], v[52:53]
	v_add_f64 v[52:53], v[54:55], v[150:151]
	v_add_f64 v[182:183], v[176:177], -v[178:179]
	v_add_f64 v[52:53], v[52:53], v[154:155]
	v_add_f64 v[52:53], v[52:53], v[156:157]
	;; [unrolled: 1-line block ×4, first 2 shown]
	v_fma_f64 v[52:53], v[52:53], -0.5, v[54:55]
	v_fma_f64 v[142:143], v[170:171], s[18:19], v[52:53]
	v_fma_f64 v[52:53], v[170:171], s[16:17], v[52:53]
	;; [unrolled: 1-line block ×6, first 2 shown]
	v_add_f64 v[52:53], v[150:151], v[158:159]
	v_add_f64 v[150:151], v[154:155], -v[150:151]
	v_add_f64 v[154:155], v[156:157], -v[158:159]
	;; [unrolled: 1-line block ×3, first 2 shown]
	v_fma_f64 v[52:53], v[52:53], -0.5, v[54:55]
	v_add_f64 v[150:151], v[150:151], v[154:155]
	v_fma_f64 v[54:55], v[168:169], s[16:17], v[52:53]
	v_fma_f64 v[52:53], v[168:169], s[18:19], v[52:53]
	v_add_f64 v[168:169], v[172:173], -v[174:175]
	v_fma_f64 v[54:55], v[170:171], s[20:21], v[54:55]
	v_fma_f64 v[52:53], v[170:171], s[14:15], v[52:53]
	v_add_f64 v[170:171], v[162:163], -v[164:165]
	v_add_f64 v[180:181], v[168:169], v[180:181]
	v_fma_f64 v[154:155], v[150:151], s[4:5], v[54:55]
	v_fma_f64 v[150:151], v[150:151], s[4:5], v[52:53]
	v_add_f64 v[52:53], v[56:57], v[172:173]
	v_add_f64 v[54:55], v[160:161], -v[166:167]
	v_add_f64 v[52:53], v[52:53], v[174:175]
	v_add_f64 v[52:53], v[52:53], v[176:177]
	;; [unrolled: 1-line block ×4, first 2 shown]
	v_fma_f64 v[52:53], v[52:53], -0.5, v[56:57]
	v_fma_f64 v[158:159], v[54:55], s[16:17], v[52:53]
	v_fma_f64 v[52:53], v[54:55], s[18:19], v[52:53]
	;; [unrolled: 1-line block ×5, first 2 shown]
	v_add_f64 v[158:159], v[172:173], v[178:179]
	v_fma_f64 v[52:53], v[180:181], s[4:5], v[52:53]
	v_add_f64 v[180:181], v[174:175], -v[172:173]
	v_add_f64 v[172:173], v[172:173], -v[178:179]
	;; [unrolled: 1-line block ×5, first 2 shown]
	v_fma_f64 v[158:159], v[158:159], -0.5, v[56:57]
	v_add_f64 v[180:181], v[180:181], v[182:183]
	v_add_f64 v[176:177], v[176:177], v[178:179]
	v_fma_f64 v[56:57], v[170:171], s[18:19], v[158:159]
	v_fma_f64 v[158:159], v[170:171], s[16:17], v[158:159]
	;; [unrolled: 1-line block ×6, first 2 shown]
	v_add_f64 v[54:55], v[58:59], v[160:161]
	v_add_f64 v[54:55], v[54:55], v[162:163]
	;; [unrolled: 1-line block ×5, first 2 shown]
	v_fma_f64 v[54:55], v[54:55], -0.5, v[58:59]
	v_fma_f64 v[170:171], v[172:173], s[18:19], v[54:55]
	v_fma_f64 v[54:55], v[172:173], s[16:17], v[54:55]
	;; [unrolled: 1-line block ×6, first 2 shown]
	v_add_f64 v[176:177], v[160:161], v[166:167]
	v_add_f64 v[160:161], v[162:163], -v[160:161]
	v_add_f64 v[162:163], v[164:165], -v[166:167]
	v_fma_f64 v[176:177], v[176:177], -0.5, v[58:59]
	v_add_f64 v[160:161], v[160:161], v[162:163]
	v_fma_f64 v[58:59], v[174:175], s[16:17], v[176:177]
	v_fma_f64 v[162:163], v[174:175], s[18:19], v[176:177]
	;; [unrolled: 1-line block ×6, first 2 shown]
	ds_write_b128 v184, v[68:71]
	ds_write_b128 v184, v[76:79] offset:4480
	ds_write_b128 v184, v[84:87] offset:8960
	;; [unrolled: 1-line block ×24, first 2 shown]
	v_lshlrev_b32_e32 v74, 4, v189
	s_waitcnt lgkmcnt(0)
	; wave barrier
	s_waitcnt lgkmcnt(0)
	global_load_dwordx4 v[62:65], v74, s[12:13]
	ds_read_b128 v[56:59], v184
	v_add_co_u32_e32 v61, vcc, s12, v74
	v_mov_b32_e32 v60, s13
	v_addc_co_u32_e32 v60, vcc, 0, v60, vcc
	s_movk_i32 s4, 0x2000
	buffer_store_dword v189, off, s[36:39], 0 offset:56 ; 4-byte Folded Spill
	s_waitcnt vmcnt(1) lgkmcnt(0)
	v_mul_f64 v[66:67], v[58:59], v[64:65]
	v_fma_f64 v[66:67], v[56:57], v[62:63], -v[66:67]
	v_mul_f64 v[56:57], v[56:57], v[64:65]
	v_fma_f64 v[68:69], v[58:59], v[62:63], v[56:57]
	v_add_co_u32_e32 v56, vcc, s4, v61
	v_addc_co_u32_e32 v57, vcc, 0, v60, vcc
	ds_read_b128 v[62:65], v184 offset:11200
	s_movk_i32 s4, 0x3000
	ds_write_b128 v184, v[66:69]
	global_load_dwordx4 v[66:69], v[56:57], off offset:3008
	s_waitcnt vmcnt(0) lgkmcnt(1)
	v_mul_f64 v[58:59], v[64:65], v[68:69]
	v_fma_f64 v[70:71], v[62:63], v[66:67], -v[58:59]
	v_mul_f64 v[58:59], v[62:63], v[68:69]
	v_fma_f64 v[72:73], v[64:65], v[66:67], v[58:59]
	global_load_dwordx4 v[66:69], v74, s[12:13] offset:896
	ds_read_b128 v[62:65], v184 offset:896
	ds_write_b128 v184, v[70:73] offset:11200
	s_waitcnt vmcnt(0) lgkmcnt(1)
	v_mul_f64 v[58:59], v[64:65], v[68:69]
	v_fma_f64 v[70:71], v[62:63], v[66:67], -v[58:59]
	v_mul_f64 v[58:59], v[62:63], v[68:69]
	v_fma_f64 v[72:73], v[64:65], v[66:67], v[58:59]
	global_load_dwordx4 v[66:69], v[56:57], off offset:3904
	ds_read_b128 v[62:65], v184 offset:12096
	ds_write_b128 v184, v[70:73] offset:896
	s_waitcnt vmcnt(0) lgkmcnt(1)
	v_mul_f64 v[58:59], v[64:65], v[68:69]
	v_fma_f64 v[70:71], v[62:63], v[66:67], -v[58:59]
	v_mul_f64 v[58:59], v[62:63], v[68:69]
	v_fma_f64 v[72:73], v[64:65], v[66:67], v[58:59]
	global_load_dwordx4 v[66:69], v74, s[12:13] offset:1792
	ds_read_b128 v[62:65], v184 offset:1792
	ds_write_b128 v184, v[70:73] offset:12096
	s_waitcnt vmcnt(0) lgkmcnt(1)
	v_mul_f64 v[58:59], v[64:65], v[68:69]
	v_fma_f64 v[70:71], v[62:63], v[66:67], -v[58:59]
	v_mul_f64 v[58:59], v[62:63], v[68:69]
	v_fma_f64 v[72:73], v[64:65], v[66:67], v[58:59]
	v_add_co_u32_e32 v58, vcc, s4, v61
	v_addc_co_u32_e32 v59, vcc, 0, v60, vcc
	global_load_dwordx4 v[66:69], v[58:59], off offset:704
	ds_read_b128 v[62:65], v184 offset:12992
	s_movk_i32 s4, 0x4000
	ds_write_b128 v184, v[70:73] offset:1792
	s_waitcnt vmcnt(0) lgkmcnt(1)
	v_mul_f64 v[70:71], v[64:65], v[68:69]
	v_fma_f64 v[70:71], v[62:63], v[66:67], -v[70:71]
	v_mul_f64 v[62:63], v[62:63], v[68:69]
	v_fma_f64 v[72:73], v[64:65], v[66:67], v[62:63]
	global_load_dwordx4 v[66:69], v74, s[12:13] offset:2688
	ds_read_b128 v[62:65], v184 offset:2688
	ds_write_b128 v184, v[70:73] offset:12992
	s_waitcnt vmcnt(0) lgkmcnt(1)
	v_mul_f64 v[70:71], v[64:65], v[68:69]
	v_fma_f64 v[70:71], v[62:63], v[66:67], -v[70:71]
	v_mul_f64 v[62:63], v[62:63], v[68:69]
	v_fma_f64 v[72:73], v[64:65], v[66:67], v[62:63]
	global_load_dwordx4 v[66:69], v[58:59], off offset:1600
	ds_read_b128 v[62:65], v184 offset:13888
	ds_write_b128 v184, v[70:73] offset:2688
	s_waitcnt vmcnt(0) lgkmcnt(1)
	v_mul_f64 v[70:71], v[64:65], v[68:69]
	v_fma_f64 v[70:71], v[62:63], v[66:67], -v[70:71]
	v_mul_f64 v[62:63], v[62:63], v[68:69]
	v_fma_f64 v[72:73], v[64:65], v[66:67], v[62:63]
	global_load_dwordx4 v[66:69], v74, s[12:13] offset:3584
	ds_read_b128 v[62:65], v184 offset:3584
	v_add_co_u32_e32 v74, vcc, s22, v61
	v_addc_co_u32_e32 v75, vcc, 0, v60, vcc
	ds_write_b128 v184, v[70:73] offset:13888
	s_waitcnt vmcnt(0) lgkmcnt(1)
	v_mul_f64 v[70:71], v[64:65], v[68:69]
	v_fma_f64 v[70:71], v[62:63], v[66:67], -v[70:71]
	v_mul_f64 v[62:63], v[62:63], v[68:69]
	v_fma_f64 v[72:73], v[64:65], v[66:67], v[62:63]
	global_load_dwordx4 v[66:69], v[58:59], off offset:2496
	ds_read_b128 v[62:65], v184 offset:14784
	ds_write_b128 v184, v[70:73] offset:3584
	s_waitcnt vmcnt(0) lgkmcnt(1)
	v_mul_f64 v[70:71], v[64:65], v[68:69]
	v_fma_f64 v[70:71], v[62:63], v[66:67], -v[70:71]
	v_mul_f64 v[62:63], v[62:63], v[68:69]
	v_fma_f64 v[72:73], v[64:65], v[66:67], v[62:63]
	global_load_dwordx4 v[66:69], v[74:75], off offset:384
	ds_read_b128 v[62:65], v184 offset:4480
	;; [unrolled: 8-line block ×4, first 2 shown]
	ds_write_b128 v184, v[70:73] offset:15680
	s_waitcnt vmcnt(0) lgkmcnt(1)
	v_mul_f64 v[58:59], v[64:65], v[68:69]
	v_fma_f64 v[70:71], v[62:63], v[66:67], -v[58:59]
	v_mul_f64 v[58:59], v[62:63], v[68:69]
	v_fma_f64 v[72:73], v[64:65], v[66:67], v[58:59]
	v_add_co_u32_e32 v58, vcc, s4, v61
	v_addc_co_u32_e32 v59, vcc, 0, v60, vcc
	global_load_dwordx4 v[66:69], v[58:59], off offset:192
	ds_read_b128 v[62:65], v184 offset:16576
	s_movk_i32 s4, 0x5000
	ds_write_b128 v184, v[70:73] offset:5376
	s_waitcnt vmcnt(0) lgkmcnt(1)
	v_mul_f64 v[70:71], v[64:65], v[68:69]
	v_fma_f64 v[70:71], v[62:63], v[66:67], -v[70:71]
	v_mul_f64 v[62:63], v[62:63], v[68:69]
	v_fma_f64 v[72:73], v[64:65], v[66:67], v[62:63]
	global_load_dwordx4 v[66:69], v[74:75], off offset:2176
	ds_read_b128 v[62:65], v184 offset:6272
	ds_write_b128 v184, v[70:73] offset:16576
	s_waitcnt vmcnt(0) lgkmcnt(1)
	v_mul_f64 v[70:71], v[64:65], v[68:69]
	v_fma_f64 v[70:71], v[62:63], v[66:67], -v[70:71]
	v_mul_f64 v[62:63], v[62:63], v[68:69]
	v_fma_f64 v[72:73], v[64:65], v[66:67], v[62:63]
	global_load_dwordx4 v[66:69], v[58:59], off offset:1088
	ds_read_b128 v[62:65], v184 offset:17472
	ds_write_b128 v184, v[70:73] offset:6272
	s_waitcnt vmcnt(0) lgkmcnt(1)
	v_mul_f64 v[70:71], v[64:65], v[68:69]
	v_fma_f64 v[70:71], v[62:63], v[66:67], -v[70:71]
	v_mul_f64 v[62:63], v[62:63], v[68:69]
	v_fma_f64 v[72:73], v[64:65], v[66:67], v[62:63]
	buffer_load_dword v66, off, s[36:39], 0 offset:524 ; 4-byte Folded Reload
	ds_read_b128 v[62:65], v184 offset:7168
	ds_write_b128 v184, v[70:73] offset:17472
	s_waitcnt vmcnt(0)
	global_load_dwordx4 v[66:69], v66, s[12:13]
	s_waitcnt vmcnt(0) lgkmcnt(1)
	v_mul_f64 v[70:71], v[64:65], v[68:69]
	v_fma_f64 v[70:71], v[62:63], v[66:67], -v[70:71]
	v_mul_f64 v[62:63], v[62:63], v[68:69]
	v_fma_f64 v[72:73], v[64:65], v[66:67], v[62:63]
	global_load_dwordx4 v[66:69], v[58:59], off offset:1984
	ds_read_b128 v[62:65], v184 offset:18368
	ds_write_b128 v184, v[70:73] offset:7168
	s_waitcnt vmcnt(0) lgkmcnt(1)
	v_mul_f64 v[70:71], v[64:65], v[68:69]
	v_fma_f64 v[70:71], v[62:63], v[66:67], -v[70:71]
	v_mul_f64 v[62:63], v[62:63], v[68:69]
	v_fma_f64 v[72:73], v[64:65], v[66:67], v[62:63]
	global_load_dwordx4 v[66:69], v[74:75], off offset:3968
	ds_read_b128 v[62:65], v184 offset:8064
	ds_write_b128 v184, v[70:73] offset:18368
	;; [unrolled: 8-line block ×6, first 2 shown]
	s_waitcnt vmcnt(0) lgkmcnt(1)
	v_mul_f64 v[66:67], v[64:65], v[58:59]
	v_mul_f64 v[58:59], v[62:63], v[58:59]
	v_fma_f64 v[66:67], v[62:63], v[56:57], -v[66:67]
	v_fma_f64 v[68:69], v[64:65], v[56:57], v[58:59]
	v_add_co_u32_e32 v56, vcc, s4, v61
	v_addc_co_u32_e32 v57, vcc, 0, v60, vcc
	ds_read_b128 v[62:65], v184 offset:21056
	ds_write_b128 v184, v[66:69] offset:9856
	global_load_dwordx4 v[66:69], v[56:57], off offset:576
	s_waitcnt vmcnt(0) lgkmcnt(1)
	v_mul_f64 v[58:59], v[64:65], v[68:69]
	v_fma_f64 v[70:71], v[62:63], v[66:67], -v[58:59]
	v_mul_f64 v[58:59], v[62:63], v[68:69]
	v_fma_f64 v[72:73], v[64:65], v[66:67], v[58:59]
	ds_write_b128 v184, v[70:73] offset:21056
	s_and_saveexec_b64 s[4:5], s[0:1]
	s_cbranch_execz .LBB0_21
; %bb.20:
	v_add_co_u32_e32 v58, vcc, 0x2000, v61
	v_addc_co_u32_e32 v59, vcc, 0, v60, vcc
	global_load_dwordx4 v[58:61], v[58:59], off offset:2560
	ds_read_b128 v[62:65], v184 offset:10752
	s_waitcnt vmcnt(0) lgkmcnt(0)
	v_mul_f64 v[66:67], v[64:65], v[60:61]
	v_mul_f64 v[60:61], v[62:63], v[60:61]
	v_fma_f64 v[66:67], v[62:63], v[58:59], -v[66:67]
	v_fma_f64 v[68:69], v[64:65], v[58:59], v[60:61]
	global_load_dwordx4 v[62:65], v[56:57], off offset:1472
	ds_read_b128 v[58:61], v184 offset:21952
	ds_write_b128 v184, v[66:69] offset:10752
	s_waitcnt vmcnt(0) lgkmcnt(1)
	v_mul_f64 v[56:57], v[60:61], v[64:65]
	v_fma_f64 v[56:57], v[58:59], v[62:63], -v[56:57]
	v_mul_f64 v[58:59], v[58:59], v[64:65]
	v_fma_f64 v[58:59], v[60:61], v[62:63], v[58:59]
	ds_write_b128 v184, v[56:59] offset:21952
.LBB0_21:
	s_or_b64 exec, exec, s[4:5]
	s_waitcnt lgkmcnt(0)
	; wave barrier
	s_waitcnt lgkmcnt(0)
	ds_read_b128 v[160:163], v184
	ds_read_b128 v[156:159], v184 offset:896
	ds_read_b128 v[164:167], v184 offset:11200
	;; [unrolled: 1-line block ×23, first 2 shown]
	s_and_saveexec_b64 s[4:5], s[0:1]
	s_cbranch_execz .LBB0_23
; %bb.22:
	ds_read_b128 v[52:55], v184 offset:10752
	ds_read_b128 v[48:51], v184 offset:21952
.LBB0_23:
	s_or_b64 exec, exec, s[4:5]
	s_waitcnt lgkmcnt(14)
	v_add_f64 v[164:165], v[160:161], -v[164:165]
	v_add_f64 v[166:167], v[162:163], -v[166:167]
	;; [unrolled: 1-line block ×8, first 2 shown]
	v_fma_f64 v[160:161], v[160:161], 2.0, -v[164:165]
	v_fma_f64 v[162:163], v[162:163], 2.0, -v[166:167]
	s_waitcnt lgkmcnt(0)
	v_add_f64 v[176:177], v[56:57], -v[60:61]
	v_add_f64 v[60:61], v[52:53], -v[48:49]
	v_fma_f64 v[156:157], v[156:157], 2.0, -v[168:169]
	v_fma_f64 v[158:159], v[158:159], 2.0, -v[170:171]
	;; [unrolled: 1-line block ×6, first 2 shown]
	s_waitcnt lgkmcnt(0)
	; wave barrier
	ds_write_b128 v190, v[160:163]
	ds_write_b128 v190, v[164:167] offset:16
	ds_write_b128 v191, v[156:159]
	ds_write_b128 v191, v[168:171] offset:16
	;; [unrolled: 2-line block ×4, first 2 shown]
	v_fma_f64 v[48:49], v[52:53], 2.0, -v[60:61]
	buffer_load_dword v52, off, s[36:39], 0 offset:444 ; 4-byte Folded Reload
	v_add_f64 v[140:141], v[136:137], -v[140:141]
	v_add_f64 v[142:143], v[138:139], -v[142:143]
	;; [unrolled: 1-line block ×8, first 2 shown]
	v_fma_f64 v[136:137], v[136:137], 2.0, -v[140:141]
	v_fma_f64 v[138:139], v[138:139], 2.0, -v[142:143]
	;; [unrolled: 1-line block ×8, first 2 shown]
	v_add_f64 v[84:85], v[80:81], -v[84:85]
	v_add_f64 v[86:87], v[82:83], -v[86:87]
	;; [unrolled: 1-line block ×8, first 2 shown]
	v_fma_f64 v[80:81], v[80:81], 2.0, -v[84:85]
	v_fma_f64 v[82:83], v[82:83], 2.0, -v[86:87]
	;; [unrolled: 1-line block ×9, first 2 shown]
	s_waitcnt vmcnt(0)
	ds_write_b128 v52, v[136:139]
	ds_write_b128 v52, v[140:143] offset:16
	buffer_load_dword v52, off, s[36:39], 0 offset:448 ; 4-byte Folded Reload
	s_waitcnt vmcnt(0)
	ds_write_b128 v52, v[112:115]
	ds_write_b128 v52, v[116:119] offset:16
	buffer_load_dword v52, off, s[36:39], 0 offset:452 ; 4-byte Folded Reload
	;; [unrolled: 4-line block ×7, first 2 shown]
	s_waitcnt vmcnt(0)
	ds_write_b128 v52, v[56:59]
	ds_write_b128 v52, v[176:179] offset:16
	s_and_saveexec_b64 s[4:5], s[0:1]
	s_cbranch_execz .LBB0_25
; %bb.24:
	buffer_load_dword v52, off, s[36:39], 0 offset:816 ; 4-byte Folded Reload
	s_waitcnt vmcnt(0)
	ds_write_b128 v52, v[48:51]
	ds_write_b128 v52, v[60:63] offset:16
.LBB0_25:
	s_or_b64 exec, exec, s[4:5]
	s_waitcnt lgkmcnt(0)
	; wave barrier
	s_waitcnt lgkmcnt(0)
	ds_read_b128 v[108:111], v184
	ds_read_b128 v[104:107], v184 offset:896
	ds_read_b128 v[164:167], v184 offset:11200
	;; [unrolled: 1-line block ×23, first 2 shown]
	s_and_saveexec_b64 s[4:5], s[0:1]
	s_cbranch_execz .LBB0_27
; %bb.26:
	ds_read_b128 v[48:51], v184 offset:10752
	ds_read_b128 v[60:63], v184 offset:21952
.LBB0_27:
	s_or_b64 exec, exec, s[4:5]
	s_waitcnt lgkmcnt(12)
	v_mul_f64 v[176:177], v[98:99], v[154:155]
	v_mul_f64 v[168:169], v[98:99], v[166:167]
	;; [unrolled: 1-line block ×5, first 2 shown]
	s_waitcnt lgkmcnt(0)
	; wave barrier
	s_waitcnt lgkmcnt(0)
	v_fma_f64 v[176:177], v[96:97], v[152:153], v[176:177]
	v_mul_f64 v[152:153], v[98:99], v[152:153]
	v_fma_f64 v[168:169], v[96:97], v[164:165], v[168:169]
	v_mul_f64 v[164:165], v[98:99], v[164:165]
	v_fma_f64 v[172:173], v[96:97], v[232:233], v[172:173]
	v_fma_f64 v[174:175], v[96:97], v[234:235], -v[174:175]
	v_fma_f64 v[170:171], v[96:97], v[238:239], -v[170:171]
	;; [unrolled: 1-line block ×3, first 2 shown]
	v_mul_f64 v[154:155], v[98:99], v[150:151]
	v_fma_f64 v[164:165], v[96:97], v[166:167], -v[164:165]
	v_mul_f64 v[166:167], v[98:99], v[162:163]
	v_fma_f64 v[154:155], v[96:97], v[148:149], v[154:155]
	v_mul_f64 v[148:149], v[98:99], v[148:149]
	v_fma_f64 v[166:167], v[96:97], v[160:161], v[166:167]
	v_mul_f64 v[160:161], v[98:99], v[160:161]
	v_fma_f64 v[148:149], v[96:97], v[150:151], -v[148:149]
	v_mul_f64 v[150:151], v[98:99], v[146:147]
	v_fma_f64 v[160:161], v[96:97], v[162:163], -v[160:161]
	v_mul_f64 v[162:163], v[98:99], v[158:159]
	v_fma_f64 v[150:151], v[96:97], v[144:145], v[150:151]
	v_mul_f64 v[144:145], v[98:99], v[144:145]
	v_fma_f64 v[162:163], v[96:97], v[156:157], v[162:163]
	v_mul_f64 v[156:157], v[98:99], v[156:157]
	v_fma_f64 v[178:179], v[96:97], v[146:147], -v[144:145]
	v_mul_f64 v[144:145], v[98:99], v[142:143]
	v_fma_f64 v[156:157], v[96:97], v[158:159], -v[156:157]
	v_mul_f64 v[158:159], v[98:99], v[238:239]
	v_add_f64 v[146:147], v[78:79], -v[148:149]
	v_add_f64 v[148:149], v[72:73], -v[150:151]
	;; [unrolled: 1-line block ×3, first 2 shown]
	v_fma_f64 v[180:181], v[96:97], v[140:141], v[144:145]
	v_mul_f64 v[140:141], v[98:99], v[140:141]
	v_fma_f64 v[158:159], v[96:97], v[236:237], v[158:159]
	v_add_f64 v[144:145], v[76:77], -v[154:155]
	v_fma_f64 v[78:79], v[78:79], 2.0, -v[146:147]
	v_fma_f64 v[72:73], v[72:73], 2.0, -v[148:149]
	;; [unrolled: 1-line block ×3, first 2 shown]
	v_fma_f64 v[182:183], v[96:97], v[142:143], -v[140:141]
	v_mul_f64 v[140:141], v[98:99], v[138:139]
	v_add_f64 v[142:143], v[82:83], -v[152:153]
	v_fma_f64 v[76:77], v[76:77], 2.0, -v[144:145]
	v_add_f64 v[152:153], v[68:69], -v[180:181]
	v_add_f64 v[154:155], v[70:71], -v[182:183]
	v_fma_f64 v[185:186], v[96:97], v[136:137], v[140:141]
	v_mul_f64 v[136:137], v[98:99], v[136:137]
	v_add_f64 v[140:141], v[80:81], -v[176:177]
	v_fma_f64 v[82:83], v[82:83], 2.0, -v[142:143]
	v_fma_f64 v[68:69], v[68:69], 2.0, -v[152:153]
	;; [unrolled: 1-line block ×3, first 2 shown]
	v_fma_f64 v[187:188], v[96:97], v[138:139], -v[136:137]
	v_mul_f64 v[136:137], v[98:99], v[118:119]
	v_add_f64 v[138:139], v[86:87], -v[174:175]
	v_fma_f64 v[80:81], v[80:81], 2.0, -v[140:141]
	v_fma_f64 v[232:233], v[96:97], v[116:117], v[136:137]
	v_mul_f64 v[116:117], v[98:99], v[116:117]
	v_add_f64 v[136:137], v[84:85], -v[172:173]
	v_fma_f64 v[86:87], v[86:87], 2.0, -v[138:139]
	v_fma_f64 v[234:235], v[96:97], v[118:119], -v[116:117]
	v_mul_f64 v[116:117], v[98:99], v[114:115]
	v_add_f64 v[118:119], v[90:91], -v[170:171]
	v_fma_f64 v[84:85], v[84:85], 2.0, -v[136:137]
	v_fma_f64 v[236:237], v[96:97], v[112:113], v[116:117]
	v_mul_f64 v[112:113], v[98:99], v[112:113]
	v_add_f64 v[116:117], v[88:89], -v[158:159]
	v_fma_f64 v[90:91], v[90:91], 2.0, -v[118:119]
	v_add_f64 v[158:159], v[66:67], -v[187:188]
	v_fma_f64 v[238:239], v[96:97], v[114:115], -v[112:113]
	v_mul_f64 v[112:113], v[98:99], v[62:63]
	v_add_f64 v[114:115], v[94:95], -v[156:157]
	v_fma_f64 v[88:89], v[88:89], 2.0, -v[116:117]
	v_add_f64 v[156:157], v[64:65], -v[185:186]
	v_fma_f64 v[66:67], v[66:67], 2.0, -v[158:159]
	v_add_f64 v[170:171], v[54:55], -v[238:239]
	v_fma_f64 v[189:190], v[96:97], v[60:61], v[112:113]
	v_mul_f64 v[60:61], v[98:99], v[60:61]
	v_add_f64 v[112:113], v[92:93], -v[162:163]
	v_fma_f64 v[94:95], v[94:95], 2.0, -v[114:115]
	v_fma_f64 v[64:65], v[64:65], 2.0, -v[156:157]
	v_add_f64 v[162:163], v[58:59], -v[234:235]
	v_fma_f64 v[174:175], v[54:55], 2.0, -v[170:171]
	v_fma_f64 v[191:192], v[96:97], v[62:63], -v[60:61]
	v_add_f64 v[62:63], v[110:111], -v[164:165]
	v_add_f64 v[60:61], v[108:109], -v[168:169]
	v_add_f64 v[168:169], v[52:53], -v[236:237]
	v_fma_f64 v[92:93], v[92:93], 2.0, -v[112:113]
	v_fma_f64 v[98:99], v[110:111], 2.0, -v[62:63]
	v_add_f64 v[110:111], v[106:107], -v[160:161]
	v_add_f64 v[160:161], v[56:57], -v[232:233]
	v_fma_f64 v[172:173], v[52:53], 2.0, -v[168:169]
	v_fma_f64 v[96:97], v[108:109], 2.0, -v[60:61]
	v_add_f64 v[108:109], v[104:105], -v[166:167]
	v_fma_f64 v[166:167], v[58:59], 2.0, -v[162:163]
	v_add_f64 v[58:59], v[50:51], -v[191:192]
	v_fma_f64 v[106:107], v[106:107], 2.0, -v[110:111]
	v_fma_f64 v[164:165], v[56:57], 2.0, -v[160:161]
	v_add_f64 v[56:57], v[48:49], -v[189:190]
	v_fma_f64 v[104:105], v[104:105], 2.0, -v[108:109]
	v_fma_f64 v[54:55], v[50:51], 2.0, -v[58:59]
	;; [unrolled: 1-line block ×3, first 2 shown]
	buffer_load_dword v48, off, s[36:39], 0 offset:476 ; 4-byte Folded Reload
	s_waitcnt vmcnt(0)
	ds_write_b128 v48, v[96:99]
	ds_write_b128 v48, v[60:63] offset:32
	buffer_load_dword v48, off, s[36:39], 0 offset:480 ; 4-byte Folded Reload
	s_waitcnt vmcnt(0)
	ds_write_b128 v48, v[104:107]
	ds_write_b128 v48, v[108:111] offset:32
	;; [unrolled: 4-line block ×12, first 2 shown]
	s_and_saveexec_b64 s[4:5], s[0:1]
	s_cbranch_execz .LBB0_29
; %bb.28:
	buffer_load_dword v48, off, s[36:39], 0 ; 4-byte Folded Reload
	s_movk_i32 s12, 0x57c
	s_waitcnt vmcnt(0)
	v_and_or_b32 v48, v48, s12, v194
	v_lshlrev_b32_e32 v48, 4, v48
	ds_write_b128 v48, v[52:55]
	ds_write_b128 v48, v[56:59] offset:32
.LBB0_29:
	s_or_b64 exec, exec, s[4:5]
	s_waitcnt lgkmcnt(0)
	; wave barrier
	s_waitcnt lgkmcnt(0)
	ds_read_b128 v[104:107], v184
	ds_read_b128 v[96:99], v184 offset:896
	ds_read_b128 v[164:167], v184 offset:11200
	;; [unrolled: 1-line block ×23, first 2 shown]
	s_and_saveexec_b64 s[4:5], s[0:1]
	s_cbranch_execz .LBB0_31
; %bb.30:
	ds_read_b128 v[52:55], v184 offset:10752
	ds_read_b128 v[56:59], v184 offset:21952
.LBB0_31:
	s_or_b64 exec, exec, s[4:5]
	s_waitcnt lgkmcnt(13)
	v_mul_f64 v[172:173], v[102:103], v[154:155]
	v_mul_f64 v[168:169], v[102:103], v[166:167]
	;; [unrolled: 1-line block ×3, first 2 shown]
	s_waitcnt lgkmcnt(0)
	; wave barrier
	s_waitcnt lgkmcnt(0)
	v_fma_f64 v[172:173], v[100:101], v[152:153], v[172:173]
	v_mul_f64 v[152:153], v[102:103], v[152:153]
	v_fma_f64 v[168:169], v[100:101], v[164:165], v[168:169]
	v_mul_f64 v[164:165], v[102:103], v[164:165]
	v_fma_f64 v[170:171], v[100:101], v[234:235], -v[170:171]
	v_fma_f64 v[152:153], v[100:101], v[154:155], -v[152:153]
	v_mul_f64 v[154:155], v[102:103], v[150:151]
	v_fma_f64 v[164:165], v[100:101], v[166:167], -v[164:165]
	v_mul_f64 v[166:167], v[102:103], v[162:163]
	v_fma_f64 v[154:155], v[100:101], v[148:149], v[154:155]
	v_mul_f64 v[148:149], v[102:103], v[148:149]
	v_fma_f64 v[166:167], v[100:101], v[160:161], v[166:167]
	v_mul_f64 v[160:161], v[102:103], v[160:161]
	v_fma_f64 v[148:149], v[100:101], v[150:151], -v[148:149]
	v_mul_f64 v[150:151], v[102:103], v[146:147]
	v_fma_f64 v[160:161], v[100:101], v[162:163], -v[160:161]
	v_mul_f64 v[162:163], v[102:103], v[158:159]
	v_fma_f64 v[150:151], v[100:101], v[144:145], v[150:151]
	v_mul_f64 v[144:145], v[102:103], v[144:145]
	v_fma_f64 v[162:163], v[100:101], v[156:157], v[162:163]
	v_mul_f64 v[156:157], v[102:103], v[156:157]
	v_fma_f64 v[144:145], v[100:101], v[146:147], -v[144:145]
	v_mul_f64 v[146:147], v[102:103], v[142:143]
	v_fma_f64 v[156:157], v[100:101], v[158:159], -v[156:157]
	v_mul_f64 v[158:159], v[102:103], v[234:235]
	v_fma_f64 v[146:147], v[100:101], v[140:141], v[146:147]
	v_mul_f64 v[140:141], v[102:103], v[140:141]
	v_fma_f64 v[158:159], v[100:101], v[232:233], v[158:159]
	v_fma_f64 v[174:175], v[100:101], v[142:143], -v[140:141]
	v_mul_f64 v[140:141], v[102:103], v[138:139]
	v_add_f64 v[142:143], v[78:79], -v[144:145]
	v_add_f64 v[144:145], v[72:73], -v[146:147]
	;; [unrolled: 1-line block ×3, first 2 shown]
	v_fma_f64 v[176:177], v[100:101], v[136:137], v[140:141]
	v_mul_f64 v[136:137], v[102:103], v[136:137]
	v_add_f64 v[140:141], v[76:77], -v[150:151]
	v_fma_f64 v[78:79], v[78:79], 2.0, -v[142:143]
	v_fma_f64 v[72:73], v[72:73], 2.0, -v[144:145]
	;; [unrolled: 1-line block ×3, first 2 shown]
	v_fma_f64 v[178:179], v[100:101], v[138:139], -v[136:137]
	v_mul_f64 v[136:137], v[102:103], v[118:119]
	v_add_f64 v[138:139], v[82:83], -v[148:149]
	v_fma_f64 v[76:77], v[76:77], 2.0, -v[140:141]
	v_add_f64 v[148:149], v[68:69], -v[176:177]
	v_add_f64 v[150:151], v[70:71], -v[178:179]
	v_fma_f64 v[180:181], v[100:101], v[116:117], v[136:137]
	v_mul_f64 v[116:117], v[102:103], v[116:117]
	v_add_f64 v[136:137], v[80:81], -v[154:155]
	v_fma_f64 v[82:83], v[82:83], 2.0, -v[138:139]
	v_fma_f64 v[68:69], v[68:69], 2.0, -v[148:149]
	;; [unrolled: 1-line block ×3, first 2 shown]
	v_fma_f64 v[182:183], v[100:101], v[118:119], -v[116:117]
	v_mul_f64 v[116:117], v[102:103], v[114:115]
	v_add_f64 v[118:119], v[86:87], -v[152:153]
	v_fma_f64 v[80:81], v[80:81], 2.0, -v[136:137]
	v_add_f64 v[152:153], v[64:65], -v[180:181]
	v_add_f64 v[154:155], v[66:67], -v[182:183]
	v_fma_f64 v[185:186], v[100:101], v[112:113], v[116:117]
	v_mul_f64 v[112:113], v[102:103], v[112:113]
	v_add_f64 v[116:117], v[84:85], -v[172:173]
	v_fma_f64 v[86:87], v[86:87], 2.0, -v[118:119]
	v_fma_f64 v[64:65], v[64:65], 2.0, -v[152:153]
	;; [unrolled: 1-line block ×3, first 2 shown]
	v_fma_f64 v[187:188], v[100:101], v[114:115], -v[112:113]
	v_mul_f64 v[112:113], v[102:103], v[110:111]
	v_add_f64 v[114:115], v[90:91], -v[170:171]
	v_fma_f64 v[84:85], v[84:85], 2.0, -v[116:117]
	v_fma_f64 v[189:190], v[100:101], v[108:109], v[112:113]
	v_mul_f64 v[108:109], v[102:103], v[108:109]
	v_add_f64 v[112:113], v[88:89], -v[158:159]
	v_fma_f64 v[90:91], v[90:91], 2.0, -v[114:115]
	v_add_f64 v[158:159], v[62:63], -v[187:188]
	v_fma_f64 v[191:192], v[100:101], v[110:111], -v[108:109]
	v_mul_f64 v[108:109], v[102:103], v[58:59]
	v_add_f64 v[110:111], v[94:95], -v[156:157]
	v_fma_f64 v[88:89], v[88:89], 2.0, -v[112:113]
	v_add_f64 v[156:157], v[60:61], -v[185:186]
	v_fma_f64 v[62:63], v[62:63], 2.0, -v[158:159]
	v_fma_f64 v[194:195], v[100:101], v[56:57], v[108:109]
	v_mul_f64 v[56:57], v[102:103], v[56:57]
	v_add_f64 v[108:109], v[92:93], -v[162:163]
	v_fma_f64 v[94:95], v[94:95], 2.0, -v[110:111]
	v_fma_f64 v[60:61], v[60:61], 2.0, -v[156:157]
	v_add_f64 v[162:163], v[50:51], -v[191:192]
	v_fma_f64 v[232:233], v[100:101], v[58:59], -v[56:57]
	v_add_f64 v[56:57], v[104:105], -v[168:169]
	buffer_load_dword v168, off, s[36:39], 0 offset:528 ; 4-byte Folded Reload
	v_add_f64 v[58:59], v[106:107], -v[164:165]
	v_fma_f64 v[92:93], v[92:93], 2.0, -v[108:109]
	v_fma_f64 v[100:101], v[104:105], 2.0, -v[56:57]
	v_add_f64 v[104:105], v[96:97], -v[166:167]
	v_fma_f64 v[102:103], v[106:107], 2.0, -v[58:59]
	v_add_f64 v[106:107], v[98:99], -v[160:161]
	v_add_f64 v[160:161], v[48:49], -v[189:190]
	v_fma_f64 v[166:167], v[50:51], 2.0, -v[162:163]
	v_add_f64 v[50:51], v[54:55], -v[232:233]
	s_waitcnt vmcnt(0)
	ds_write_b128 v168, v[100:103]
	ds_write_b128 v168, v[56:59] offset:64
	buffer_load_dword v56, off, s[36:39], 0 offset:532 ; 4-byte Folded Reload
	v_fma_f64 v[96:97], v[96:97], 2.0, -v[104:105]
	v_fma_f64 v[98:99], v[98:99], 2.0, -v[106:107]
	;; [unrolled: 1-line block ×3, first 2 shown]
	v_add_f64 v[48:49], v[52:53], -v[194:195]
	s_waitcnt vmcnt(0)
	ds_write_b128 v56, v[96:99]
	ds_write_b128 v56, v[104:107] offset:64
	buffer_load_dword v56, off, s[36:39], 0 offset:536 ; 4-byte Folded Reload
	s_waitcnt vmcnt(0)
	ds_write_b128 v56, v[92:95]
	ds_write_b128 v56, v[108:111] offset:64
	buffer_load_dword v56, off, s[36:39], 0 offset:540 ; 4-byte Folded Reload
	;; [unrolled: 4-line block ×10, first 2 shown]
	s_waitcnt vmcnt(0)
	ds_write_b128 v56, v[164:167]
	ds_write_b128 v56, v[160:163] offset:64
	s_and_saveexec_b64 s[4:5], s[0:1]
	s_cbranch_execz .LBB0_33
; %bb.32:
	buffer_load_dword v56, off, s[36:39], 0 ; 4-byte Folded Reload
	buffer_load_dword v57, off, s[36:39], 0 offset:812 ; 4-byte Folded Reload
	v_fma_f64 v[54:55], v[54:55], 2.0, -v[50:51]
	v_fma_f64 v[52:53], v[52:53], 2.0, -v[48:49]
	s_movk_i32 s12, 0x578
	s_waitcnt vmcnt(0)
	v_and_or_b32 v56, v56, s12, v57
	v_lshlrev_b32_e32 v56, 4, v56
	ds_write_b128 v56, v[52:55]
	ds_write_b128 v56, v[48:51] offset:64
.LBB0_33:
	s_or_b64 exec, exec, s[4:5]
	s_waitcnt lgkmcnt(0)
	; wave barrier
	s_waitcnt lgkmcnt(0)
	ds_read_b128 v[74:77], v184
	ds_read_b128 v[62:65], v184 offset:4480
	ds_read_b128 v[66:69], v184 offset:8960
	;; [unrolled: 1-line block ×24, first 2 shown]
	s_waitcnt lgkmcnt(14)
	v_mul_f64 v[52:53], v[134:135], v[64:65]
	s_mov_b32 s14, 0x134454ff
	s_mov_b32 s15, 0xbfee6f0e
	;; [unrolled: 1-line block ×7, first 2 shown]
	v_fma_f64 v[86:87], v[132:133], v[62:63], v[52:53]
	v_mul_f64 v[52:53], v[134:135], v[62:63]
	s_waitcnt lgkmcnt(7)
	v_mul_f64 v[62:63], v[130:131], v[158:159]
	s_mov_b32 s18, s12
	s_mov_b32 s4, 0x372fe950
	;; [unrolled: 1-line block ×3, first 2 shown]
	s_waitcnt lgkmcnt(0)
	; wave barrier
	s_waitcnt lgkmcnt(0)
	v_fma_f64 v[90:91], v[132:133], v[64:65], -v[52:53]
	v_mul_f64 v[52:53], v[130:131], v[68:69]
	v_fma_f64 v[189:190], v[128:129], v[66:67], v[52:53]
	v_mul_f64 v[52:53], v[130:131], v[66:67]
	v_fma_f64 v[191:192], v[128:129], v[68:69], -v[52:53]
	v_mul_f64 v[52:53], v[126:127], v[72:73]
	v_fma_f64 v[68:69], v[124:125], v[70:71], v[52:53]
	v_mul_f64 v[52:53], v[126:127], v[70:71]
	v_add_f64 v[70:71], v[86:87], -v[189:190]
	v_add_f64 v[64:65], v[189:190], v[68:69]
	v_fma_f64 v[194:195], v[124:125], v[72:73], -v[52:53]
	v_mul_f64 v[52:53], v[122:123], v[84:85]
	v_fma_f64 v[64:65], v[64:65], -0.5, v[74:75]
	v_fma_f64 v[72:73], v[120:121], v[82:83], v[52:53]
	v_mul_f64 v[52:53], v[122:123], v[82:83]
	v_fma_f64 v[82:83], v[120:121], v[84:85], -v[52:53]
	v_mul_f64 v[52:53], v[134:135], v[98:99]
	v_add_f64 v[84:85], v[90:91], -v[82:83]
	v_fma_f64 v[88:89], v[132:133], v[96:97], v[52:53]
	v_mul_f64 v[52:53], v[134:135], v[96:97]
	v_fma_f64 v[66:67], v[84:85], s[14:15], v[64:65]
	v_fma_f64 v[64:65], v[84:85], s[16:17], v[64:65]
	v_fma_f64 v[104:105], v[132:133], v[98:99], -v[52:53]
	v_mul_f64 v[52:53], v[130:131], v[102:103]
	v_fma_f64 v[166:167], v[128:129], v[100:101], v[52:53]
	v_mul_f64 v[52:53], v[130:131], v[100:101]
	v_fma_f64 v[108:109], v[128:129], v[102:103], -v[52:53]
	v_mul_f64 v[52:53], v[126:127], v[112:113]
	v_fma_f64 v[168:169], v[124:125], v[110:111], v[52:53]
	v_mul_f64 v[52:53], v[126:127], v[110:111]
	;; [unrolled: 4-line block ×5, first 2 shown]
	v_fma_f64 v[116:117], v[128:129], v[142:143], -v[52:53]
	v_fma_f64 v[142:143], v[128:129], v[156:157], v[62:63]
	v_mul_f64 v[62:63], v[130:131], v[156:157]
	v_mul_f64 v[52:53], v[126:127], v[146:147]
	v_fma_f64 v[96:97], v[128:129], v[158:159], -v[62:63]
	v_mul_f64 v[62:63], v[126:127], v[174:175]
	v_fma_f64 v[140:141], v[124:125], v[144:145], v[52:53]
	v_mul_f64 v[52:53], v[126:127], v[144:145]
	v_fma_f64 v[160:161], v[124:125], v[172:173], v[62:63]
	v_mul_f64 v[62:63], v[126:127], v[172:173]
	v_fma_f64 v[118:119], v[124:125], v[146:147], -v[52:53]
	v_mul_f64 v[52:53], v[122:123], v[150:151]
	v_fma_f64 v[100:101], v[124:125], v[174:175], -v[62:63]
	v_mul_f64 v[62:63], v[122:123], v[178:179]
	v_fma_f64 v[144:145], v[120:121], v[148:149], v[52:53]
	v_mul_f64 v[52:53], v[122:123], v[148:149]
	v_fma_f64 v[162:163], v[120:121], v[176:177], v[62:63]
	v_mul_f64 v[62:63], v[122:123], v[176:177]
	v_fma_f64 v[136:137], v[120:121], v[150:151], -v[52:53]
	;; [unrolled: 8-line block ×3, first 2 shown]
	v_add_f64 v[134:135], v[166:167], -v[168:169]
	v_fma_f64 v[98:99], v[132:133], v[182:183], -v[62:63]
	v_mul_f64 v[62:63], v[130:131], v[234:235]
	v_add_f64 v[132:133], v[88:89], -v[170:171]
	v_fma_f64 v[154:155], v[128:129], v[232:233], v[62:63]
	v_mul_f64 v[62:63], v[130:131], v[232:233]
	v_add_f64 v[130:131], v[168:169], -v[170:171]
	v_fma_f64 v[102:103], v[128:129], v[234:235], -v[62:63]
	v_mul_f64 v[62:63], v[126:127], v[238:239]
	v_add_f64 v[128:129], v[170:171], -v[168:169]
	v_fma_f64 v[156:157], v[124:125], v[236:237], v[62:63]
	v_mul_f64 v[62:63], v[126:127], v[236:237]
	;; [unrolled: 6-line block ×3, first 2 shown]
	v_add_f64 v[122:123], v[191:192], -v[194:195]
	v_fma_f64 v[150:151], v[120:121], v[187:188], -v[62:63]
	v_add_f64 v[120:121], v[72:73], -v[68:69]
	v_fma_f64 v[66:67], v[122:123], s[12:13], v[66:67]
	v_fma_f64 v[64:65], v[122:123], s[18:19], v[64:65]
	v_add_f64 v[62:63], v[74:75], v[86:87]
	v_add_f64 v[120:121], v[70:71], v[120:121]
	;; [unrolled: 1-line block ×3, first 2 shown]
	v_fma_f64 v[70:71], v[120:121], s[4:5], v[66:67]
	v_fma_f64 v[66:67], v[120:121], s[4:5], v[64:65]
	v_add_f64 v[64:65], v[86:87], v[72:73]
	v_add_f64 v[120:121], v[189:190], -v[86:87]
	v_add_f64 v[62:63], v[62:63], v[68:69]
	v_add_f64 v[86:87], v[86:87], -v[72:73]
	v_fma_f64 v[64:65], v[64:65], -0.5, v[74:75]
	v_add_f64 v[124:125], v[120:121], v[124:125]
	v_add_f64 v[62:63], v[62:63], v[72:73]
	v_fma_f64 v[74:75], v[122:123], s[16:17], v[64:65]
	v_fma_f64 v[64:65], v[122:123], s[14:15], v[64:65]
	v_add_f64 v[122:123], v[82:83], -v[194:195]
	v_fma_f64 v[74:75], v[84:85], s[12:13], v[74:75]
	v_fma_f64 v[64:65], v[84:85], s[18:19], v[64:65]
	v_add_f64 v[84:85], v[191:192], v[194:195]
	v_fma_f64 v[120:121], v[124:125], s[4:5], v[74:75]
	v_fma_f64 v[74:75], v[124:125], s[4:5], v[64:65]
	v_fma_f64 v[84:85], v[84:85], -0.5, v[76:77]
	v_add_f64 v[124:125], v[189:190], -v[68:69]
	v_add_f64 v[64:65], v[76:77], v[90:91]
	v_fma_f64 v[72:73], v[86:87], s[16:17], v[84:85]
	v_add_f64 v[64:65], v[64:65], v[191:192]
	v_fma_f64 v[68:69], v[124:125], s[18:19], v[72:73]
	v_add_f64 v[72:73], v[90:91], -v[191:192]
	v_add_f64 v[64:65], v[64:65], v[194:195]
	v_add_f64 v[122:123], v[72:73], v[122:123]
	;; [unrolled: 1-line block ×3, first 2 shown]
	v_fma_f64 v[72:73], v[122:123], s[4:5], v[68:69]
	v_fma_f64 v[68:69], v[86:87], s[14:15], v[84:85]
	v_add_f64 v[84:85], v[90:91], v[82:83]
	v_add_f64 v[90:91], v[191:192], -v[90:91]
	v_add_f64 v[82:83], v[194:195], -v[82:83]
	v_fma_f64 v[68:69], v[124:125], s[12:13], v[68:69]
	v_fma_f64 v[76:77], v[84:85], -0.5, v[76:77]
	v_add_f64 v[82:83], v[90:91], v[82:83]
	v_add_f64 v[90:91], v[88:89], -v[166:167]
	v_fma_f64 v[68:69], v[122:123], s[4:5], v[68:69]
	v_fma_f64 v[84:85], v[124:125], s[14:15], v[76:77]
	;; [unrolled: 1-line block ×3, first 2 shown]
	v_add_f64 v[124:125], v[104:105], -v[164:165]
	v_add_f64 v[128:129], v[90:91], v[128:129]
	v_fma_f64 v[84:85], v[86:87], s[18:19], v[84:85]
	v_fma_f64 v[76:77], v[86:87], s[12:13], v[76:77]
	;; [unrolled: 1-line block ×3, first 2 shown]
	v_add_f64 v[84:85], v[166:167], v[168:169]
	v_fma_f64 v[76:77], v[82:83], s[4:5], v[76:77]
	v_add_f64 v[82:83], v[92:93], v[88:89]
	v_fma_f64 v[84:85], v[84:85], -0.5, v[92:93]
	v_add_f64 v[82:83], v[82:83], v[166:167]
	v_fma_f64 v[86:87], v[124:125], s[14:15], v[84:85]
	v_fma_f64 v[84:85], v[124:125], s[16:17], v[84:85]
	v_add_f64 v[82:83], v[82:83], v[168:169]
	v_fma_f64 v[86:87], v[126:127], s[12:13], v[86:87]
	v_fma_f64 v[84:85], v[126:127], s[18:19], v[84:85]
	;; [unrolled: 3-line block ×3, first 2 shown]
	v_add_f64 v[84:85], v[88:89], v[170:171]
	v_add_f64 v[128:129], v[166:167], -v[88:89]
	v_add_f64 v[166:167], v[140:141], -v[144:145]
	v_fma_f64 v[84:85], v[84:85], -0.5, v[92:93]
	v_add_f64 v[130:131], v[128:129], v[130:131]
	v_fma_f64 v[92:93], v[126:127], s[16:17], v[84:85]
	v_fma_f64 v[84:85], v[126:127], s[14:15], v[84:85]
	;; [unrolled: 1-line block ×5, first 2 shown]
	v_add_f64 v[92:93], v[108:109], v[112:113]
	v_fma_f64 v[124:125], v[130:131], s[4:5], v[84:85]
	v_add_f64 v[130:131], v[164:165], -v[112:113]
	v_add_f64 v[84:85], v[94:95], v[104:105]
	v_fma_f64 v[126:127], v[92:93], -0.5, v[94:95]
	v_add_f64 v[92:93], v[104:105], -v[108:109]
	v_add_f64 v[84:85], v[84:85], v[108:109]
	v_fma_f64 v[88:89], v[132:133], s[16:17], v[126:127]
	v_add_f64 v[130:131], v[92:93], v[130:131]
	v_add_f64 v[84:85], v[84:85], v[112:113]
	v_fma_f64 v[88:89], v[134:135], s[18:19], v[88:89]
	v_add_f64 v[84:85], v[84:85], v[164:165]
	v_fma_f64 v[92:93], v[130:131], s[4:5], v[88:89]
	v_fma_f64 v[88:89], v[132:133], s[14:15], v[126:127]
	v_add_f64 v[126:127], v[104:105], v[164:165]
	v_add_f64 v[104:105], v[108:109], -v[104:105]
	v_add_f64 v[108:109], v[112:113], -v[164:165]
	;; [unrolled: 1-line block ×4, first 2 shown]
	v_fma_f64 v[88:89], v[134:135], s[12:13], v[88:89]
	v_fma_f64 v[94:95], v[126:127], -0.5, v[94:95]
	v_add_f64 v[104:105], v[104:105], v[108:109]
	v_add_f64 v[108:109], v[106:107], -v[110:111]
	v_fma_f64 v[88:89], v[130:131], s[4:5], v[88:89]
	v_fma_f64 v[126:127], v[134:135], s[14:15], v[94:95]
	v_fma_f64 v[94:95], v[134:135], s[16:17], v[94:95]
	v_add_f64 v[134:135], v[114:115], -v[136:137]
	v_add_f64 v[112:113], v[108:109], v[112:113]
	v_fma_f64 v[126:127], v[132:133], s[18:19], v[126:127]
	v_fma_f64 v[94:95], v[132:133], s[12:13], v[94:95]
	;; [unrolled: 1-line block ×4, first 2 shown]
	v_add_f64 v[94:95], v[78:79], v[106:107]
	v_add_f64 v[94:95], v[94:95], v[110:111]
	;; [unrolled: 1-line block ×5, first 2 shown]
	v_add_f64 v[140:141], v[110:111], -v[140:141]
	v_fma_f64 v[94:95], v[94:95], -0.5, v[78:79]
	v_fma_f64 v[104:105], v[134:135], s[14:15], v[94:95]
	v_fma_f64 v[94:95], v[134:135], s[16:17], v[94:95]
	;; [unrolled: 1-line block ×6, first 2 shown]
	v_add_f64 v[94:95], v[106:107], v[144:145]
	v_add_f64 v[112:113], v[110:111], -v[106:107]
	v_add_f64 v[144:145], v[106:107], -v[144:145]
	;; [unrolled: 1-line block ×3, first 2 shown]
	v_fma_f64 v[78:79], v[94:95], -0.5, v[78:79]
	v_add_f64 v[166:167], v[112:113], v[166:167]
	v_fma_f64 v[94:95], v[164:165], s[16:17], v[78:79]
	v_fma_f64 v[78:79], v[164:165], s[14:15], v[78:79]
	v_add_f64 v[164:165], v[136:137], -v[118:119]
	v_fma_f64 v[94:95], v[134:135], s[12:13], v[94:95]
	v_fma_f64 v[78:79], v[134:135], s[18:19], v[78:79]
	v_add_f64 v[164:165], v[110:111], v[164:165]
	v_fma_f64 v[112:113], v[166:167], s[4:5], v[94:95]
	v_add_f64 v[94:95], v[80:81], v[114:115]
	v_fma_f64 v[78:79], v[166:167], s[4:5], v[78:79]
	v_add_f64 v[166:167], v[160:161], -v[162:163]
	v_add_f64 v[94:95], v[94:95], v[116:117]
	v_add_f64 v[94:95], v[94:95], v[118:119]
	;; [unrolled: 1-line block ×4, first 2 shown]
	v_fma_f64 v[94:95], v[94:95], -0.5, v[80:81]
	v_fma_f64 v[106:107], v[144:145], s[16:17], v[94:95]
	v_fma_f64 v[94:95], v[144:145], s[14:15], v[94:95]
	;; [unrolled: 1-line block ×6, first 2 shown]
	v_add_f64 v[94:95], v[114:115], v[136:137]
	v_add_f64 v[114:115], v[116:117], -v[114:115]
	v_add_f64 v[116:117], v[118:119], -v[136:137]
	;; [unrolled: 1-line block ×4, first 2 shown]
	v_fma_f64 v[80:81], v[94:95], -0.5, v[80:81]
	v_add_f64 v[116:117], v[114:115], v[116:117]
	v_fma_f64 v[94:95], v[140:141], s[14:15], v[80:81]
	v_fma_f64 v[80:81], v[140:141], s[16:17], v[80:81]
	v_add_f64 v[140:141], v[138:139], -v[142:143]
	v_fma_f64 v[94:95], v[144:145], s[18:19], v[94:95]
	v_fma_f64 v[80:81], v[144:145], s[12:13], v[80:81]
	v_add_f64 v[144:145], v[96:97], -v[100:101]
	v_add_f64 v[164:165], v[140:141], v[164:165]
	v_fma_f64 v[114:115], v[116:117], s[4:5], v[94:95]
	v_add_f64 v[94:95], v[58:59], v[138:139]
	v_fma_f64 v[80:81], v[116:117], s[4:5], v[80:81]
	v_add_f64 v[94:95], v[94:95], v[142:143]
	v_add_f64 v[94:95], v[94:95], v[160:161]
	;; [unrolled: 1-line block ×4, first 2 shown]
	v_add_f64 v[160:161], v[142:143], -v[160:161]
	v_fma_f64 v[94:95], v[94:95], -0.5, v[58:59]
	v_fma_f64 v[136:137], v[118:119], s[14:15], v[94:95]
	v_fma_f64 v[94:95], v[118:119], s[16:17], v[94:95]
	;; [unrolled: 1-line block ×6, first 2 shown]
	v_add_f64 v[94:95], v[138:139], v[162:163]
	v_add_f64 v[164:165], v[142:143], -v[138:139]
	v_add_f64 v[142:143], v[52:53], -v[96:97]
	v_fma_f64 v[58:59], v[94:95], -0.5, v[58:59]
	v_add_f64 v[164:165], v[164:165], v[166:167]
	v_fma_f64 v[94:95], v[144:145], s[16:17], v[58:59]
	v_fma_f64 v[58:59], v[144:145], s[14:15], v[58:59]
	;; [unrolled: 1-line block ×6, first 2 shown]
	v_add_f64 v[58:59], v[60:61], v[52:53]
	v_add_f64 v[94:95], v[138:139], -v[162:163]
	v_add_f64 v[162:163], v[146:147], -v[100:101]
	v_add_f64 v[58:59], v[58:59], v[96:97]
	v_add_f64 v[162:163], v[142:143], v[162:163]
	;; [unrolled: 1-line block ×5, first 2 shown]
	v_fma_f64 v[58:59], v[58:59], -0.5, v[60:61]
	v_fma_f64 v[138:139], v[94:95], s[16:17], v[58:59]
	v_fma_f64 v[58:59], v[94:95], s[14:15], v[58:59]
	;; [unrolled: 1-line block ×6, first 2 shown]
	v_add_f64 v[58:59], v[52:53], v[146:147]
	v_add_f64 v[52:53], v[96:97], -v[52:53]
	v_add_f64 v[96:97], v[100:101], -v[146:147]
	;; [unrolled: 1-line block ×4, first 2 shown]
	v_fma_f64 v[58:59], v[58:59], -0.5, v[60:61]
	v_add_f64 v[52:53], v[52:53], v[96:97]
	v_add_f64 v[96:97], v[152:153], -v[154:155]
	v_fma_f64 v[60:61], v[160:161], s[14:15], v[58:59]
	v_fma_f64 v[58:59], v[160:161], s[16:17], v[58:59]
	v_add_f64 v[96:97], v[96:97], v[100:101]
	v_add_f64 v[100:101], v[154:155], -v[152:153]
	v_fma_f64 v[60:61], v[94:95], s[18:19], v[60:61]
	v_fma_f64 v[58:59], v[94:95], s[12:13], v[58:59]
	v_add_f64 v[94:95], v[102:103], -v[148:149]
	v_add_f64 v[100:101], v[100:101], v[162:163]
	v_fma_f64 v[234:235], v[52:53], s[4:5], v[60:61]
	v_fma_f64 v[146:147], v[52:53], s[4:5], v[58:59]
	v_add_f64 v[52:53], v[54:55], v[152:153]
	v_add_f64 v[60:61], v[98:99], -v[150:151]
	v_add_f64 v[52:53], v[52:53], v[154:155]
	v_add_f64 v[52:53], v[52:53], v[156:157]
	;; [unrolled: 1-line block ×4, first 2 shown]
	v_fma_f64 v[58:59], v[52:53], -0.5, v[54:55]
	v_fma_f64 v[52:53], v[60:61], s[14:15], v[58:59]
	v_fma_f64 v[58:59], v[60:61], s[16:17], v[58:59]
	;; [unrolled: 1-line block ×6, first 2 shown]
	v_add_f64 v[96:97], v[152:153], v[158:159]
	v_fma_f64 v[54:55], v[96:97], -0.5, v[54:55]
	v_fma_f64 v[96:97], v[94:95], s[16:17], v[54:55]
	v_fma_f64 v[54:55], v[94:95], s[14:15], v[54:55]
	v_add_f64 v[94:95], v[152:153], -v[158:159]
	v_add_f64 v[152:153], v[154:155], -v[156:157]
	;; [unrolled: 1-line block ×4, first 2 shown]
	v_fma_f64 v[96:97], v[60:61], s[12:13], v[96:97]
	v_fma_f64 v[54:55], v[60:61], s[18:19], v[54:55]
	v_add_f64 v[154:155], v[154:155], v[156:157]
	v_fma_f64 v[96:97], v[100:101], s[4:5], v[96:97]
	v_fma_f64 v[100:101], v[100:101], s[4:5], v[54:55]
	v_add_f64 v[54:55], v[56:57], v[98:99]
	v_add_f64 v[54:55], v[54:55], v[102:103]
	;; [unrolled: 1-line block ×5, first 2 shown]
	v_fma_f64 v[60:61], v[54:55], -0.5, v[56:57]
	v_fma_f64 v[54:55], v[94:95], s[16:17], v[60:61]
	v_fma_f64 v[60:61], v[94:95], s[14:15], v[60:61]
	;; [unrolled: 1-line block ×6, first 2 shown]
	v_add_f64 v[154:155], v[98:99], v[150:151]
	v_add_f64 v[98:99], v[102:103], -v[98:99]
	v_add_f64 v[102:103], v[148:149], -v[150:151]
	v_fma_f64 v[56:57], v[154:155], -0.5, v[56:57]
	v_add_f64 v[102:103], v[98:99], v[102:103]
	v_fma_f64 v[154:155], v[152:153], s[14:15], v[56:57]
	v_fma_f64 v[56:57], v[152:153], s[16:17], v[56:57]
	;; [unrolled: 1-line block ×6, first 2 shown]
	buffer_load_dword v56, off, s[36:39], 0 offset:576 ; 4-byte Folded Reload
	s_waitcnt vmcnt(0)
	ds_write_b128 v56, v[62:65]
	ds_write_b128 v56, v[70:73] offset:128
	ds_write_b128 v56, v[120:123] offset:256
	ds_write_b128 v56, v[74:77] offset:384
	ds_write_b128 v56, v[66:69] offset:512
	buffer_load_dword v56, off, s[36:39], 0 offset:580 ; 4-byte Folded Reload
	s_waitcnt vmcnt(0)
	ds_write_b128 v56, v[82:85]
	ds_write_b128 v56, v[90:93] offset:128
	ds_write_b128 v56, v[128:131] offset:256
	ds_write_b128 v56, v[124:127] offset:384
	ds_write_b128 v56, v[86:89] offset:512
	;; [unrolled: 7-line block ×5, first 2 shown]
	s_waitcnt lgkmcnt(0)
	; wave barrier
	s_waitcnt lgkmcnt(0)
	ds_read_b128 v[70:73], v184
	ds_read_b128 v[152:155], v184 offset:3200
	ds_read_b128 v[148:151], v184 offset:6400
	;; [unrolled: 1-line block ×20, first 2 shown]
	s_and_saveexec_b64 s[4:5], s[2:3]
	s_cbranch_execz .LBB0_35
; %bb.34:
	ds_read_b128 v[52:55], v184 offset:2688
	ds_read_b128 v[96:99], v184 offset:5888
	;; [unrolled: 1-line block ×6, first 2 shown]
	s_waitcnt lgkmcnt(0)
	buffer_store_dword v156, off, s[36:39], 0 offset:4 ; 4-byte Folded Spill
	s_nop 0
	buffer_store_dword v157, off, s[36:39], 0 offset:8 ; 4-byte Folded Spill
	buffer_store_dword v158, off, s[36:39], 0 offset:12 ; 4-byte Folded Spill
	;; [unrolled: 1-line block ×3, first 2 shown]
	ds_read_b128 v[156:159], v184 offset:21888
	s_waitcnt lgkmcnt(0)
	buffer_store_dword v156, off, s[36:39], 0 offset:20 ; 4-byte Folded Spill
	s_nop 0
	buffer_store_dword v157, off, s[36:39], 0 offset:24 ; 4-byte Folded Spill
	buffer_store_dword v158, off, s[36:39], 0 offset:28 ; 4-byte Folded Spill
	;; [unrolled: 1-line block ×3, first 2 shown]
.LBB0_35:
	s_or_b64 exec, exec, s[4:5]
	buffer_load_dword v156, off, s[36:39], 0 offset:660 ; 4-byte Folded Reload
	buffer_load_dword v157, off, s[36:39], 0 offset:664 ; 4-byte Folded Reload
	;; [unrolled: 1-line block ×4, first 2 shown]
	s_mov_b32 s16, 0x37e14327
	s_mov_b32 s12, 0x36b3c0b5
	;; [unrolled: 1-line block ×20, first 2 shown]
	s_waitcnt vmcnt(0) lgkmcnt(14)
	v_mul_f64 v[56:57], v[158:159], v[154:155]
	v_mul_f64 v[94:95], v[158:159], v[152:153]
	v_fma_f64 v[56:57], v[156:157], v[152:153], v[56:57]
	v_fma_f64 v[94:95], v[156:157], v[154:155], -v[94:95]
	buffer_load_dword v154, off, s[36:39], 0 offset:644 ; 4-byte Folded Reload
	buffer_load_dword v155, off, s[36:39], 0 offset:648 ; 4-byte Folded Reload
	buffer_load_dword v156, off, s[36:39], 0 offset:652 ; 4-byte Folded Reload
	buffer_load_dword v157, off, s[36:39], 0 offset:656 ; 4-byte Folded Reload
	s_waitcnt vmcnt(0)
	v_mul_f64 v[152:153], v[156:157], v[150:151]
	v_fma_f64 v[152:153], v[154:155], v[148:149], v[152:153]
	v_mul_f64 v[148:149], v[156:157], v[148:149]
	v_fma_f64 v[148:149], v[154:155], v[150:151], -v[148:149]
	buffer_load_dword v154, off, s[36:39], 0 offset:628 ; 4-byte Folded Reload
	buffer_load_dword v155, off, s[36:39], 0 offset:632 ; 4-byte Folded Reload
	buffer_load_dword v156, off, s[36:39], 0 offset:636 ; 4-byte Folded Reload
	buffer_load_dword v157, off, s[36:39], 0 offset:640 ; 4-byte Folded Reload
	s_waitcnt vmcnt(0)
	v_mul_f64 v[150:151], v[156:157], v[146:147]
	v_fma_f64 v[150:151], v[154:155], v[144:145], v[150:151]
	v_mul_f64 v[144:145], v[156:157], v[144:145]
	;; [unrolled: 9-line block ×5, first 2 shown]
	v_fma_f64 v[128:129], v[154:155], v[130:131], -v[128:129]
	buffer_load_dword v154, off, s[36:39], 0 offset:756 ; 4-byte Folded Reload
	buffer_load_dword v155, off, s[36:39], 0 offset:760 ; 4-byte Folded Reload
	buffer_load_dword v156, off, s[36:39], 0 offset:764 ; 4-byte Folded Reload
	buffer_load_dword v157, off, s[36:39], 0 offset:768 ; 4-byte Folded Reload
	s_waitcnt vmcnt(0) lgkmcnt(12)
	v_mul_f64 v[130:131], v[156:157], v[134:135]
	v_fma_f64 v[130:131], v[154:155], v[132:133], v[130:131]
	v_mul_f64 v[132:133], v[156:157], v[132:133]
	v_fma_f64 v[132:133], v[154:155], v[134:135], -v[132:133]
	buffer_load_dword v154, off, s[36:39], 0 offset:740 ; 4-byte Folded Reload
	buffer_load_dword v155, off, s[36:39], 0 offset:744 ; 4-byte Folded Reload
	buffer_load_dword v156, off, s[36:39], 0 offset:748 ; 4-byte Folded Reload
	buffer_load_dword v157, off, s[36:39], 0 offset:752 ; 4-byte Folded Reload
	s_waitcnt vmcnt(0) lgkmcnt(11)
	v_mul_f64 v[134:135], v[156:157], v[126:127]
	v_fma_f64 v[134:135], v[154:155], v[124:125], v[134:135]
	v_mul_f64 v[124:125], v[156:157], v[124:125]
	v_fma_f64 v[124:125], v[154:155], v[126:127], -v[124:125]
	buffer_load_dword v154, off, s[36:39], 0 offset:708 ; 4-byte Folded Reload
	buffer_load_dword v155, off, s[36:39], 0 offset:712 ; 4-byte Folded Reload
	buffer_load_dword v156, off, s[36:39], 0 offset:716 ; 4-byte Folded Reload
	buffer_load_dword v157, off, s[36:39], 0 offset:720 ; 4-byte Folded Reload
	s_waitcnt vmcnt(0) lgkmcnt(10)
	v_mul_f64 v[126:127], v[156:157], v[122:123]
	v_fma_f64 v[126:127], v[154:155], v[120:121], v[126:127]
	v_mul_f64 v[120:121], v[156:157], v[120:121]
	v_fma_f64 v[120:121], v[154:155], v[122:123], -v[120:121]
	buffer_load_dword v154, off, s[36:39], 0 offset:676 ; 4-byte Folded Reload
	buffer_load_dword v155, off, s[36:39], 0 offset:680 ; 4-byte Folded Reload
	buffer_load_dword v156, off, s[36:39], 0 offset:684 ; 4-byte Folded Reload
	buffer_load_dword v157, off, s[36:39], 0 offset:688 ; 4-byte Folded Reload
	s_waitcnt vmcnt(0) lgkmcnt(9)
	v_mul_f64 v[122:123], v[156:157], v[118:119]
	v_fma_f64 v[122:123], v[154:155], v[116:117], v[122:123]
	v_mul_f64 v[116:117], v[156:157], v[116:117]
	v_fma_f64 v[116:117], v[154:155], v[118:119], -v[116:117]
	buffer_load_dword v154, off, s[36:39], 0 offset:788 ; 4-byte Folded Reload
	buffer_load_dword v155, off, s[36:39], 0 offset:792 ; 4-byte Folded Reload
	buffer_load_dword v156, off, s[36:39], 0 offset:796 ; 4-byte Folded Reload
	buffer_load_dword v157, off, s[36:39], 0 offset:800 ; 4-byte Folded Reload
	s_waitcnt vmcnt(0) lgkmcnt(8)
	v_mul_f64 v[118:119], v[156:157], v[114:115]
	v_fma_f64 v[118:119], v[154:155], v[112:113], v[118:119]
	v_mul_f64 v[112:113], v[156:157], v[112:113]
	v_fma_f64 v[112:113], v[154:155], v[114:115], -v[112:113]
	buffer_load_dword v154, off, s[36:39], 0 offset:724 ; 4-byte Folded Reload
	buffer_load_dword v155, off, s[36:39], 0 offset:728 ; 4-byte Folded Reload
	buffer_load_dword v156, off, s[36:39], 0 offset:732 ; 4-byte Folded Reload
	buffer_load_dword v157, off, s[36:39], 0 offset:736 ; 4-byte Folded Reload
	s_waitcnt vmcnt(0) lgkmcnt(7)
	v_mul_f64 v[114:115], v[156:157], v[110:111]
	v_fma_f64 v[114:115], v[154:155], v[108:109], v[114:115]
	v_mul_f64 v[108:109], v[156:157], v[108:109]
	v_fma_f64 v[108:109], v[154:155], v[110:111], -v[108:109]
	s_waitcnt lgkmcnt(5)
	v_mul_f64 v[110:111], v[214:215], v[106:107]
	v_fma_f64 v[154:155], v[212:213], v[104:105], v[110:111]
	v_mul_f64 v[104:105], v[214:215], v[104:105]
	v_fma_f64 v[156:157], v[212:213], v[106:107], -v[104:105]
	s_waitcnt lgkmcnt(4)
	v_mul_f64 v[104:105], v[206:207], v[92:93]
	v_fma_f64 v[158:159], v[204:205], v[90:91], v[104:105]
	v_mul_f64 v[90:91], v[206:207], v[90:91]
	v_fma_f64 v[160:161], v[204:205], v[92:93], -v[90:91]
	s_waitcnt lgkmcnt(3)
	v_mul_f64 v[90:91], v[198:199], v[88:89]
	v_add_f64 v[92:93], v[146:147], -v[150:151]
	v_fma_f64 v[162:163], v[196:197], v[86:87], v[90:91]
	v_mul_f64 v[86:87], v[198:199], v[86:87]
	v_fma_f64 v[164:165], v[196:197], v[88:89], -v[86:87]
	buffer_load_dword v88, off, s[36:39], 0 offset:772 ; 4-byte Folded Reload
	buffer_load_dword v89, off, s[36:39], 0 offset:776 ; 4-byte Folded Reload
	;; [unrolled: 1-line block ×4, first 2 shown]
	s_waitcnt lgkmcnt(0)
	; wave barrier
	s_waitcnt vmcnt(0) lgkmcnt(0)
	v_mul_f64 v[86:87], v[90:91], v[84:85]
	v_fma_f64 v[166:167], v[88:89], v[82:83], v[86:87]
	v_mul_f64 v[82:83], v[90:91], v[82:83]
	v_add_f64 v[86:87], v[148:149], -v[136:137]
	v_add_f64 v[90:91], v[144:145], v[140:141]
	v_fma_f64 v[168:169], v[88:89], v[84:85], -v[82:83]
	v_mul_f64 v[82:83], v[210:211], v[80:81]
	v_add_f64 v[84:85], v[152:153], -v[142:143]
	v_add_f64 v[88:89], v[150:151], v[146:147]
	v_add_f64 v[146:147], v[164:165], v[168:169]
	v_fma_f64 v[170:171], v[208:209], v[78:79], v[82:83]
	v_mul_f64 v[78:79], v[210:211], v[78:79]
	v_add_f64 v[82:83], v[148:149], v[136:137]
	v_add_f64 v[136:137], v[92:93], v[84:85]
	v_add_f64 v[148:149], v[166:167], -v[162:163]
	v_add_f64 v[150:151], v[168:169], -v[164:165]
	v_fma_f64 v[172:173], v[208:209], v[80:81], -v[78:79]
	v_mul_f64 v[78:79], v[202:203], v[76:77]
	v_add_f64 v[80:81], v[152:153], v[142:143]
	v_fma_f64 v[174:175], v[200:201], v[74:75], v[78:79]
	v_mul_f64 v[74:75], v[202:203], v[74:75]
	v_add_f64 v[78:79], v[94:95], -v[128:129]
	v_fma_f64 v[176:177], v[200:201], v[76:77], -v[74:75]
	v_add_f64 v[74:75], v[56:57], v[138:139]
	v_add_f64 v[76:77], v[94:95], v[128:129]
	v_add_f64 v[56:57], v[56:57], -v[138:139]
	v_add_f64 v[94:95], v[140:141], -v[144:145]
	;; [unrolled: 1-line block ×3, first 2 shown]
	v_add_f64 v[144:145], v[162:163], v[166:167]
	v_add_f64 v[104:105], v[80:81], v[74:75]
	;; [unrolled: 1-line block ×3, first 2 shown]
	v_add_f64 v[110:111], v[80:81], -v[74:75]
	v_add_f64 v[128:129], v[82:83], -v[76:77]
	;; [unrolled: 1-line block ×6, first 2 shown]
	v_add_f64 v[138:139], v[94:95], v[86:87]
	v_add_f64 v[142:143], v[94:95], -v[86:87]
	v_add_f64 v[84:85], v[84:85], -v[56:57]
	v_add_f64 v[88:89], v[88:89], v[104:105]
	v_add_f64 v[90:91], v[90:91], v[106:107]
	v_add_f64 v[92:93], v[56:57], -v[92:93]
	v_add_f64 v[94:95], v[78:79], -v[94:95]
	;; [unrolled: 1-line block ×3, first 2 shown]
	v_add_f64 v[56:57], v[136:137], v[56:57]
	v_add_f64 v[78:79], v[138:139], v[78:79]
	v_mul_f64 v[74:75], v[74:75], s[16:17]
	v_add_f64 v[70:71], v[70:71], v[88:89]
	v_add_f64 v[72:73], v[72:73], v[90:91]
	v_mul_f64 v[76:77], v[76:77], s[16:17]
	v_mul_f64 v[104:105], v[80:81], s[12:13]
	;; [unrolled: 1-line block ×7, first 2 shown]
	v_fma_f64 v[88:89], v[88:89], s[26:27], v[70:71]
	v_fma_f64 v[90:91], v[90:91], s[26:27], v[72:73]
	;; [unrolled: 1-line block ×4, first 2 shown]
	v_fma_f64 v[104:105], v[110:111], s[14:15], -v[104:105]
	v_fma_f64 v[106:107], v[128:129], s[14:15], -v[106:107]
	;; [unrolled: 1-line block ×4, first 2 shown]
	v_fma_f64 v[110:111], v[92:93], s[28:29], v[136:137]
	v_fma_f64 v[128:129], v[94:95], s[28:29], v[138:139]
	v_fma_f64 v[84:85], v[84:85], s[4:5], -v[136:137]
	v_fma_f64 v[86:87], v[86:87], s[4:5], -v[138:139]
	;; [unrolled: 1-line block ×4, first 2 shown]
	v_add_f64 v[136:137], v[80:81], v[88:89]
	v_add_f64 v[138:139], v[82:83], v[90:91]
	;; [unrolled: 1-line block ×6, first 2 shown]
	v_fma_f64 v[110:111], v[56:57], s[22:23], v[110:111]
	v_fma_f64 v[128:129], v[78:79], s[22:23], v[128:129]
	;; [unrolled: 1-line block ×6, first 2 shown]
	v_add_f64 v[94:95], v[132:133], v[108:109]
	v_add_f64 v[108:109], v[132:133], -v[108:109]
	v_add_f64 v[76:77], v[138:139], -v[110:111]
	v_add_f64 v[74:75], v[128:129], v[136:137]
	v_add_f64 v[84:85], v[88:89], v[106:107]
	v_add_f64 v[82:83], v[104:105], -v[86:87]
	v_add_f64 v[80:81], v[142:143], -v[56:57]
	v_add_f64 v[86:87], v[86:87], v[104:105]
	v_add_f64 v[88:89], v[106:107], -v[88:89]
	v_add_f64 v[92:93], v[56:57], v[142:143]
	;; [unrolled: 2-line block ×3, first 2 shown]
	v_add_f64 v[56:57], v[130:131], v[114:115]
	v_add_f64 v[110:111], v[130:131], -v[114:115]
	v_add_f64 v[114:115], v[134:135], v[118:119]
	v_add_f64 v[128:129], v[124:125], v[112:113]
	v_add_f64 v[118:119], v[134:135], -v[118:119]
	v_add_f64 v[112:113], v[124:125], -v[112:113]
	v_add_f64 v[124:125], v[126:127], v[122:123]
	v_add_f64 v[130:131], v[120:121], v[116:117]
	v_add_f64 v[122:123], v[122:123], -v[126:127]
	v_add_f64 v[116:117], v[116:117], -v[120:121]
	v_add_f64 v[120:121], v[114:115], v[56:57]
	v_add_f64 v[126:127], v[128:129], v[94:95]
	;; [unrolled: 1-line block ×3, first 2 shown]
	v_add_f64 v[90:91], v[140:141], -v[90:91]
	v_add_f64 v[132:133], v[114:115], -v[56:57]
	;; [unrolled: 1-line block ×7, first 2 shown]
	v_add_f64 v[136:137], v[122:123], v[118:119]
	v_add_f64 v[138:139], v[116:117], v[112:113]
	v_add_f64 v[140:141], v[122:123], -v[118:119]
	v_add_f64 v[142:143], v[116:117], -v[112:113]
	;; [unrolled: 1-line block ×3, first 2 shown]
	v_add_f64 v[120:121], v[124:125], v[120:121]
	v_add_f64 v[124:125], v[130:131], v[126:127]
	v_add_f64 v[122:123], v[110:111], -v[122:123]
	v_add_f64 v[116:117], v[108:109], -v[116:117]
	;; [unrolled: 1-line block ×3, first 2 shown]
	v_add_f64 v[110:111], v[136:137], v[110:111]
	v_add_f64 v[108:109], v[138:139], v[108:109]
	v_mul_f64 v[56:57], v[56:57], s[16:17]
	v_add_f64 v[66:67], v[66:67], v[120:121]
	v_add_f64 v[68:69], v[68:69], v[124:125]
	v_mul_f64 v[94:95], v[94:95], s[16:17]
	v_mul_f64 v[126:127], v[114:115], s[12:13]
	;; [unrolled: 1-line block ×7, first 2 shown]
	v_fma_f64 v[120:121], v[120:121], s[26:27], v[66:67]
	v_fma_f64 v[124:125], v[124:125], s[26:27], v[68:69]
	v_fma_f64 v[114:115], v[114:115], s[12:13], v[56:57]
	v_fma_f64 v[128:129], v[128:129], s[12:13], v[94:95]
	v_fma_f64 v[126:127], v[132:133], s[14:15], -v[126:127]
	v_fma_f64 v[130:131], v[134:135], s[14:15], -v[130:131]
	;; [unrolled: 1-line block ×4, first 2 shown]
	v_fma_f64 v[132:133], v[122:123], s[28:29], v[136:137]
	v_fma_f64 v[134:135], v[116:117], s[28:29], v[138:139]
	v_fma_f64 v[118:119], v[118:119], s[4:5], -v[136:137]
	v_fma_f64 v[116:117], v[116:117], s[24:25], -v[142:143]
	;; [unrolled: 1-line block ×4, first 2 shown]
	v_add_f64 v[136:137], v[114:115], v[120:121]
	v_add_f64 v[138:139], v[128:129], v[124:125]
	;; [unrolled: 1-line block ×5, first 2 shown]
	v_fma_f64 v[130:131], v[110:111], s[22:23], v[132:133]
	v_fma_f64 v[132:133], v[108:109], s[22:23], v[134:135]
	;; [unrolled: 1-line block ×4, first 2 shown]
	v_add_f64 v[126:127], v[126:127], v[120:121]
	v_fma_f64 v[120:121], v[108:109], s[22:23], v[112:113]
	v_fma_f64 v[134:135], v[110:111], s[22:23], v[122:123]
	v_add_f64 v[142:143], v[160:161], -v[172:173]
	v_add_f64 v[110:111], v[138:139], -v[130:131]
	v_add_f64 v[108:109], v[132:133], v[136:137]
	v_add_f64 v[118:119], v[124:125], v[128:129]
	v_add_f64 v[112:113], v[140:141], v[56:57]
	v_add_f64 v[122:123], v[128:129], -v[124:125]
	v_add_f64 v[124:125], v[56:57], -v[140:141]
	;; [unrolled: 1-line block ×3, first 2 shown]
	v_add_f64 v[56:57], v[154:155], v[174:175]
	v_add_f64 v[136:137], v[158:159], v[170:171]
	v_add_f64 v[114:115], v[94:95], -v[134:135]
	v_add_f64 v[116:117], v[126:127], -v[120:121]
	v_add_f64 v[120:121], v[120:121], v[126:127]
	v_add_f64 v[126:127], v[134:135], v[94:95]
	;; [unrolled: 1-line block ×4, first 2 shown]
	v_add_f64 v[132:133], v[154:155], -v[174:175]
	v_add_f64 v[134:135], v[156:157], -v[176:177]
	v_add_f64 v[138:139], v[160:161], v[172:173]
	v_add_f64 v[140:141], v[158:159], -v[170:171]
	v_add_f64 v[152:153], v[136:137], v[56:57]
	v_add_f64 v[156:157], v[136:137], -v[56:57]
	v_add_f64 v[56:57], v[56:57], -v[144:145]
	;; [unrolled: 1-line block ×3, first 2 shown]
	v_add_f64 v[162:163], v[150:151], v[142:143]
	v_add_f64 v[166:167], v[150:151], -v[142:143]
	v_add_f64 v[154:155], v[138:139], v[94:95]
	v_add_f64 v[158:159], v[138:139], -v[94:95]
	v_add_f64 v[94:95], v[94:95], -v[146:147]
	v_add_f64 v[138:139], v[146:147], -v[138:139]
	v_add_f64 v[160:161], v[148:149], v[140:141]
	v_add_f64 v[164:165], v[148:149], -v[140:141]
	v_add_f64 v[140:141], v[140:141], -v[132:133]
	;; [unrolled: 4-line block ×3, first 2 shown]
	v_add_f64 v[146:147], v[146:147], v[154:155]
	v_add_f64 v[132:133], v[160:161], v[132:133]
	;; [unrolled: 1-line block ×3, first 2 shown]
	v_mul_f64 v[56:57], v[56:57], s[16:17]
	v_mul_f64 v[94:95], v[94:95], s[16:17]
	v_add_f64 v[62:63], v[62:63], v[144:145]
	v_mul_f64 v[152:153], v[136:137], s[12:13]
	v_mul_f64 v[154:155], v[138:139], s[12:13]
	v_mul_f64 v[160:161], v[164:165], s[20:21]
	v_mul_f64 v[162:163], v[166:167], s[20:21]
	v_mul_f64 v[164:165], v[140:141], s[4:5]
	v_mul_f64 v[166:167], v[142:143], s[4:5]
	v_fma_f64 v[136:137], v[136:137], s[12:13], v[56:57]
	v_fma_f64 v[144:145], v[144:145], s[26:27], v[62:63]
	v_fma_f64 v[138:139], v[138:139], s[12:13], v[94:95]
	v_fma_f64 v[152:153], v[156:157], s[14:15], -v[152:153]
	v_fma_f64 v[154:155], v[158:159], s[14:15], -v[154:155]
	;; [unrolled: 1-line block ×4, first 2 shown]
	v_fma_f64 v[156:157], v[148:149], s[28:29], v[160:161]
	v_fma_f64 v[158:159], v[150:151], s[28:29], v[162:163]
	v_fma_f64 v[148:149], v[148:149], s[24:25], -v[164:165]
	v_fma_f64 v[150:151], v[150:151], s[24:25], -v[166:167]
	v_fma_f64 v[140:141], v[140:141], s[4:5], -v[160:161]
	v_add_f64 v[160:161], v[136:137], v[144:145]
	v_add_f64 v[56:57], v[56:57], v[144:145]
	v_add_f64 v[64:65], v[64:65], v[146:147]
	v_fma_f64 v[142:143], v[142:143], s[4:5], -v[162:163]
	v_add_f64 v[152:153], v[152:153], v[144:145]
	v_fma_f64 v[164:165], v[132:133], s[22:23], v[148:149]
	v_fma_f64 v[148:149], v[134:135], s[22:23], v[150:151]
	;; [unrolled: 1-line block ×6, first 2 shown]
	v_add_f64 v[136:137], v[148:149], v[56:57]
	v_add_f64 v[148:149], v[56:57], -v[148:149]
	buffer_load_dword v56, off, s[36:39], 0 offset:804 ; 4-byte Folded Reload
	s_waitcnt vmcnt(0)
	ds_write_b128 v56, v[70:73]
	ds_write_b128 v56, v[74:77] offset:640
	ds_write_b128 v56, v[78:81] offset:1280
	ds_write_b128 v56, v[82:85] offset:1920
	ds_write_b128 v56, v[86:89] offset:2560
	ds_write_b128 v56, v[90:93] offset:3200
	ds_write_b128 v56, v[104:107] offset:3840
	buffer_load_dword v56, off, s[36:39], 0 offset:808 ; 4-byte Folded Reload
	v_add_f64 v[162:163], v[138:139], v[146:147]
	v_add_f64 v[154:155], v[154:155], v[146:147]
	;; [unrolled: 1-line block ×3, first 2 shown]
	v_fma_f64 v[146:147], v[132:133], s[22:23], v[140:141]
	v_add_f64 v[132:133], v[158:159], v[160:161]
	v_add_f64 v[140:141], v[152:153], -v[144:145]
	v_add_f64 v[144:145], v[144:145], v[152:153]
	v_add_f64 v[152:153], v[160:161], -v[158:159]
	v_add_f64 v[134:135], v[162:163], -v[156:157]
	;; [unrolled: 1-line block ×3, first 2 shown]
	v_add_f64 v[142:143], v[146:147], v[154:155]
	v_add_f64 v[146:147], v[154:155], -v[146:147]
	v_add_f64 v[150:151], v[164:165], v[94:95]
	v_add_f64 v[154:155], v[156:157], v[162:163]
	s_waitcnt vmcnt(0)
	ds_write_b128 v56, v[66:69]
	ds_write_b128 v56, v[108:111] offset:640
	ds_write_b128 v56, v[112:115] offset:1280
	;; [unrolled: 1-line block ×6, first 2 shown]
	ds_write_b128 v193, v[62:65]
	ds_write_b128 v193, v[132:135] offset:640
	ds_write_b128 v193, v[136:139] offset:1280
	;; [unrolled: 1-line block ×6, first 2 shown]
	s_and_saveexec_b64 s[30:31], s[2:3]
	s_cbranch_execz .LBB0_37
; %bb.36:
	buffer_load_dword v84, off, s[36:39], 0 offset:872 ; 4-byte Folded Reload
	buffer_load_dword v85, off, s[36:39], 0 offset:876 ; 4-byte Folded Reload
	;; [unrolled: 1-line block ×32, first 2 shown]
	s_waitcnt vmcnt(28)
	v_mul_f64 v[74:75], v[86:87], v[96:97]
	s_waitcnt vmcnt(22)
	v_mul_f64 v[72:73], v[106:107], v[116:117]
	;; [unrolled: 2-line block ×6, first 2 shown]
	v_mul_f64 v[76:77], v[110:111], v[112:113]
	v_mul_f64 v[78:79], v[82:83], v[100:101]
	;; [unrolled: 1-line block ×4, first 2 shown]
	v_fma_f64 v[64:65], v[88:89], v[48:49], v[64:65]
	v_fma_f64 v[66:67], v[92:93], v[58:59], v[66:67]
	;; [unrolled: 1-line block ×4, first 2 shown]
	v_fma_f64 v[72:73], v[104:105], v[118:119], -v[72:73]
	v_fma_f64 v[74:75], v[84:85], v[98:99], -v[74:75]
	;; [unrolled: 1-line block ×4, first 2 shown]
	v_mul_f64 v[58:59], v[94:95], v[58:59]
	v_mul_f64 v[48:49], v[90:91], v[48:49]
	v_fma_f64 v[56:57], v[84:85], v[96:97], v[56:57]
	v_fma_f64 v[62:63], v[104:105], v[116:117], v[62:63]
	v_add_f64 v[80:81], v[64:65], -v[66:67]
	v_add_f64 v[82:83], v[68:69], -v[70:71]
	v_add_f64 v[84:85], v[74:75], v[72:73]
	v_add_f64 v[86:87], v[78:79], v[76:77]
	v_fma_f64 v[58:59], v[92:93], v[60:61], -v[58:59]
	v_fma_f64 v[48:49], v[88:89], v[50:51], -v[48:49]
	v_add_f64 v[64:65], v[66:67], v[64:65]
	v_add_f64 v[60:61], v[56:57], -v[62:63]
	v_add_f64 v[56:57], v[56:57], v[62:63]
	v_add_f64 v[50:51], v[80:81], -v[82:83]
	v_add_f64 v[92:93], v[80:81], v[82:83]
	v_add_f64 v[88:89], v[86:87], v[84:85]
	v_add_f64 v[62:63], v[68:69], v[70:71]
	v_add_f64 v[90:91], v[58:59], v[48:49]
	v_add_f64 v[72:73], v[74:75], -v[72:73]
	v_add_f64 v[68:69], v[60:61], -v[80:81]
	v_mul_f64 v[70:71], v[50:51], s[20:21]
	v_add_f64 v[80:81], v[90:91], v[88:89]
	v_add_f64 v[88:89], v[92:93], v[60:61]
	;; [unrolled: 1-line block ×3, first 2 shown]
	v_fma_f64 v[66:67], v[68:69], s[28:29], v[70:71]
	v_add_f64 v[50:51], v[54:55], v[80:81]
	v_add_f64 v[54:55], v[48:49], -v[58:59]
	v_add_f64 v[48:49], v[84:85], -v[90:91]
	;; [unrolled: 1-line block ×4, first 2 shown]
	v_add_f64 v[78:79], v[64:65], v[92:93]
	v_fma_f64 v[90:91], v[88:89], s[22:23], v[66:67]
	v_add_f64 v[66:67], v[56:57], -v[64:65]
	v_fma_f64 v[80:81], v[80:81], s[26:27], v[50:51]
	v_add_f64 v[64:65], v[64:65], -v[62:63]
	v_mul_f64 v[92:93], v[48:49], s[16:17]
	v_add_f64 v[74:75], v[54:55], -v[58:59]
	v_mul_f64 v[94:95], v[76:77], s[12:13]
	v_add_f64 v[48:49], v[52:53], v[78:79]
	v_add_f64 v[52:53], v[82:83], -v[60:61]
	v_mul_f64 v[60:61], v[66:67], s[16:17]
	v_add_f64 v[66:67], v[72:73], -v[54:55]
	v_add_f64 v[54:55], v[54:55], v[58:59]
	v_fma_f64 v[76:77], v[76:77], s[12:13], v[92:93]
	v_mul_f64 v[74:75], v[74:75], s[20:21]
	v_add_f64 v[58:59], v[58:59], -v[72:73]
	v_add_f64 v[56:57], v[62:63], -v[56:57]
	;; [unrolled: 1-line block ×3, first 2 shown]
	v_fma_f64 v[86:87], v[64:65], s[12:13], v[60:61]
	v_mul_f64 v[82:83], v[52:53], s[4:5]
	v_add_f64 v[72:73], v[54:55], v[72:73]
	v_add_f64 v[76:77], v[76:77], v[80:81]
	v_mul_f64 v[54:55], v[64:65], s[12:13]
	v_fma_f64 v[96:97], v[66:67], s[28:29], v[74:75]
	v_mul_f64 v[62:63], v[58:59], s[4:5]
	v_fma_f64 v[60:61], v[56:57], s[18:19], -v[60:61]
	v_fma_f64 v[58:59], v[58:59], s[4:5], -v[74:75]
	v_fma_f64 v[78:79], v[78:79], s[26:27], v[48:49]
	v_fma_f64 v[64:65], v[68:69], s[24:25], -v[82:83]
	v_add_f64 v[74:75], v[76:77], -v[90:91]
	v_fma_f64 v[56:57], v[56:57], s[14:15], -v[54:55]
	v_add_f64 v[54:55], v[90:91], v[76:77]
	buffer_load_dword v77, off, s[36:39], 0 offset:820 ; 4-byte Folded Reload
	v_fma_f64 v[68:69], v[84:85], s[18:19], -v[92:93]
	v_fma_f64 v[84:85], v[84:85], s[14:15], -v[94:95]
	;; [unrolled: 1-line block ×4, first 2 shown]
	v_add_f64 v[82:83], v[86:87], v[78:79]
	v_fma_f64 v[86:87], v[72:73], s[22:23], v[96:97]
	v_fma_f64 v[64:65], v[88:89], s[22:23], v[64:65]
	v_add_f64 v[56:57], v[56:57], v[78:79]
	v_add_f64 v[68:69], v[68:69], v[80:81]
	;; [unrolled: 1-line block ×3, first 2 shown]
	v_fma_f64 v[70:71], v[88:89], s[22:23], v[52:53]
	v_add_f64 v[80:81], v[60:61], v[78:79]
	v_fma_f64 v[84:85], v[72:73], s[22:23], v[62:63]
	v_fma_f64 v[60:61], v[72:73], s[22:23], v[58:59]
	v_add_f64 v[72:73], v[86:87], v[82:83]
	v_add_f64 v[52:53], v[82:83], -v[86:87]
	v_add_f64 v[58:59], v[64:65], v[68:69]
	v_mov_b32_e32 v76, 4
	v_add_f64 v[62:63], v[66:67], -v[70:71]
	v_add_f64 v[66:67], v[70:71], v[66:67]
	v_add_f64 v[70:71], v[68:69], -v[64:65]
	v_add_f64 v[68:69], v[84:85], v[80:81]
	;; [unrolled: 2-line block ×3, first 2 shown]
	v_add_f64 v[56:57], v[80:81], -v[84:85]
	s_waitcnt vmcnt(0)
	v_lshlrev_b32_sdwa v76, v76, v77 dst_sel:DWORD dst_unused:UNUSED_PAD src0_sel:DWORD src1_sel:BYTE_0
	ds_write_b128 v76, v[48:51] offset:17920
	ds_write_b128 v76, v[72:75] offset:18560
	;; [unrolled: 1-line block ×7, first 2 shown]
.LBB0_37:
	s_or_b64 exec, exec, s[30:31]
	buffer_load_dword v156, off, s[36:39], 0 offset:44 ; 4-byte Folded Reload
	buffer_load_dword v157, off, s[36:39], 0 offset:48 ; 4-byte Folded Reload
	s_waitcnt lgkmcnt(0)
	; wave barrier
	s_waitcnt lgkmcnt(0)
	ds_read_b128 v[52:55], v184 offset:4480
	ds_read_b128 v[62:65], v184 offset:13440
	ds_read_b128 v[70:73], v184
	ds_read_b128 v[56:59], v184 offset:896
	ds_read_b128 v[66:69], v184 offset:8960
	;; [unrolled: 1-line block ×6, first 2 shown]
	s_waitcnt lgkmcnt(4)
	v_mul_f64 v[110:111], v[230:231], v[68:69]
	v_mul_f64 v[112:113], v[230:231], v[66:67]
	;; [unrolled: 1-line block ×6, first 2 shown]
	ds_read_b128 v[86:89], v184 offset:5376
	ds_read_b128 v[90:93], v184 offset:6272
	;; [unrolled: 1-line block ×5, first 2 shown]
	v_fma_f64 v[110:111], v[228:229], v[66:67], v[110:111]
	v_fma_f64 v[112:113], v[228:229], v[68:69], -v[112:113]
	s_waitcnt lgkmcnt(7)
	v_mul_f64 v[66:67], v[218:219], v[80:81]
	v_mul_f64 v[68:69], v[218:219], v[78:79]
	v_fma_f64 v[114:115], v[224:225], v[52:53], v[106:107]
	v_fma_f64 v[116:117], v[224:225], v[54:55], -v[108:109]
	ds_read_b128 v[106:109], v184 offset:1792
	ds_read_b128 v[52:55], v184 offset:2688
	v_fma_f64 v[118:119], v[220:221], v[62:63], v[118:119]
	v_fma_f64 v[120:121], v[220:221], v[64:65], -v[120:121]
	s_waitcnt lgkmcnt(6)
	v_mul_f64 v[122:123], v[250:251], v[88:89]
	v_mul_f64 v[124:125], v[250:251], v[86:87]
	v_fma_f64 v[126:127], v[216:217], v[78:79], v[66:67]
	v_fma_f64 v[128:129], v[216:217], v[80:81], -v[68:69]
	ds_read_b128 v[62:65], v184 offset:10752
	ds_read_b128 v[66:69], v184 offset:11648
	v_mul_f64 v[78:79], v[254:255], v[76:77]
	v_mul_f64 v[80:81], v[254:255], v[74:75]
	;; [unrolled: 1-line block ×3, first 2 shown]
	s_waitcnt lgkmcnt(1)
	v_mul_f64 v[140:141], v[14:15], v[64:65]
	v_fma_f64 v[122:123], v[248:249], v[86:87], v[122:123]
	v_fma_f64 v[124:125], v[248:249], v[88:89], -v[124:125]
	v_mul_f64 v[86:87], v[246:247], v[96:97]
	v_mul_f64 v[88:89], v[246:247], v[94:95]
	;; [unrolled: 1-line block ×5, first 2 shown]
	v_fma_f64 v[140:141], v[12:13], v[62:63], v[140:141]
	v_mul_f64 v[62:63], v[6:7], v[100:101]
	v_fma_f64 v[130:131], v[252:253], v[74:75], v[78:79]
	v_fma_f64 v[132:133], v[252:253], v[76:77], -v[80:81]
	ds_read_b128 v[74:77], v184 offset:19712
	ds_read_b128 v[78:81], v184 offset:20608
	v_fma_f64 v[94:95], v[244:245], v[94:95], v[86:87]
	v_fma_f64 v[96:97], v[244:245], v[96:97], -v[88:89]
	v_fma_f64 v[134:135], v[240:241], v[82:83], v[134:135]
	v_fma_f64 v[136:137], v[240:241], v[84:85], -v[136:137]
	ds_read_b128 v[82:85], v184 offset:7168
	ds_read_b128 v[86:89], v184 offset:8064
	v_mul_f64 v[138:139], v[10:11], v[92:93]
	v_mul_f64 v[10:11], v[10:11], v[90:91]
	v_fma_f64 v[146:147], v[12:13], v[64:65], -v[14:15]
	s_waitcnt lgkmcnt(3)
	v_mul_f64 v[14:15], v[2:3], v[76:77]
	v_mul_f64 v[2:3], v[2:3], v[74:75]
	v_fma_f64 v[98:99], v[4:5], v[98:99], v[62:63]
	v_fma_f64 v[100:101], v[4:5], v[100:101], -v[144:145]
	s_waitcnt lgkmcnt(1)
	v_mul_f64 v[4:5], v[22:23], v[84:85]
	v_fma_f64 v[138:139], v[8:9], v[90:91], v[138:139]
	v_fma_f64 v[142:143], v[8:9], v[92:93], -v[10:11]
	ds_read_b128 v[6:9], v184 offset:16128
	ds_read_b128 v[10:13], v184 offset:17024
	ds_read_b128 v[90:93], v184 offset:21504
	v_fma_f64 v[74:75], v[0:1], v[74:75], v[14:15]
	v_fma_f64 v[144:145], v[0:1], v[76:77], -v[2:3]
	v_mul_f64 v[0:1], v[22:23], v[82:83]
	v_mul_f64 v[2:3], v[30:31], v[68:69]
	;; [unrolled: 1-line block ×3, first 2 shown]
	s_waitcnt lgkmcnt(2)
	v_mul_f64 v[22:23], v[26:27], v[8:9]
	v_fma_f64 v[148:149], v[20:21], v[82:83], v[4:5]
	v_mul_f64 v[4:5], v[18:19], v[80:81]
	v_mul_f64 v[26:27], v[26:27], v[6:7]
	;; [unrolled: 1-line block ×3, first 2 shown]
	v_fma_f64 v[62:63], v[20:21], v[84:85], -v[0:1]
	v_fma_f64 v[150:151], v[28:29], v[66:67], v[2:3]
	v_fma_f64 v[64:65], v[28:29], v[68:69], -v[14:15]
	v_fma_f64 v[152:153], v[24:25], v[6:7], v[22:23]
	v_mul_f64 v[0:1], v[42:43], v[88:89]
	v_fma_f64 v[154:155], v[16:17], v[78:79], v[4:5]
	v_mul_f64 v[2:3], v[42:43], v[86:87]
	v_mul_f64 v[4:5], v[46:47], v[104:105]
	v_add_f64 v[6:7], v[70:71], v[114:115]
	v_add_f64 v[14:15], v[110:111], v[118:119]
	v_fma_f64 v[66:67], v[24:25], v[8:9], -v[26:27]
	v_fma_f64 v[68:69], v[16:17], v[80:81], -v[18:19]
	v_mul_f64 v[8:9], v[46:47], v[102:103]
	v_fma_f64 v[26:27], v[40:41], v[86:87], v[0:1]
	s_waitcnt lgkmcnt(1)
	v_mul_f64 v[0:1], v[38:39], v[12:13]
	v_mul_f64 v[16:17], v[38:39], v[10:11]
	v_fma_f64 v[22:23], v[40:41], v[88:89], -v[2:3]
	v_fma_f64 v[28:29], v[44:45], v[102:103], v[4:5]
	v_add_f64 v[2:3], v[6:7], v[110:111]
	v_fma_f64 v[4:5], v[14:15], -0.5, v[70:71]
	v_add_f64 v[6:7], v[116:117], -v[128:129]
	s_waitcnt vmcnt(1)
	v_mad_u64_u32 v[60:61], s[2:3], s10, v156, 0
	s_mov_b32 s2, 0x134454ff
	s_mov_b32 s3, 0xbfee6f0e
	v_fma_f64 v[24:25], v[44:45], v[104:105], -v[8:9]
	v_fma_f64 v[30:31], v[36:37], v[10:11], v[0:1]
	v_fma_f64 v[20:21], v[36:37], v[12:13], -v[16:17]
	s_waitcnt lgkmcnt(0)
	v_mul_f64 v[0:1], v[34:35], v[92:93]
	v_mul_f64 v[8:9], v[34:35], v[90:91]
	v_add_f64 v[2:3], v[2:3], v[118:119]
	v_fma_f64 v[10:11], v[6:7], s[2:3], v[4:5]
	v_add_f64 v[12:13], v[112:113], -v[120:121]
	v_add_f64 v[14:15], v[114:115], v[126:127]
	v_add_f64 v[16:17], v[114:115], -v[110:111]
	v_add_f64 v[18:19], v[126:127], -v[118:119]
	s_mov_b32 s4, 0x4755a5e
	s_mov_b32 s5, 0xbfe2cf23
	;; [unrolled: 1-line block ×4, first 2 shown]
	v_fma_f64 v[34:35], v[32:33], v[90:91], v[0:1]
	v_fma_f64 v[32:33], v[32:33], v[92:93], -v[8:9]
	v_add_f64 v[0:1], v[2:3], v[126:127]
	v_fma_f64 v[2:3], v[14:15], -0.5, v[70:71]
	v_fma_f64 v[8:9], v[12:13], s[4:5], v[10:11]
	v_add_f64 v[10:11], v[16:17], v[18:19]
	v_add_f64 v[14:15], v[112:113], v[120:121]
	v_fma_f64 v[4:5], v[6:7], s[12:13], v[4:5]
	v_add_f64 v[18:19], v[110:111], -v[114:115]
	v_add_f64 v[36:37], v[118:119], -v[126:127]
	s_mov_b32 s15, 0x3fe2cf23
	s_mov_b32 s14, s4
	v_fma_f64 v[16:17], v[12:13], s[12:13], v[2:3]
	v_fma_f64 v[2:3], v[12:13], s[2:3], v[2:3]
	v_add_f64 v[38:39], v[72:73], v[116:117]
	v_fma_f64 v[14:15], v[14:15], -0.5, v[72:73]
	v_add_f64 v[40:41], v[114:115], -v[126:127]
	v_fma_f64 v[4:5], v[12:13], s[14:15], v[4:5]
	v_add_f64 v[18:19], v[18:19], v[36:37]
	v_add_f64 v[36:37], v[116:117], v[128:129]
	s_mov_b32 s16, 0x372fe950
	s_mov_b32 s17, 0x3fd3c6ef
	v_fma_f64 v[12:13], v[6:7], s[4:5], v[16:17]
	v_fma_f64 v[2:3], v[6:7], s[14:15], v[2:3]
	v_add_f64 v[6:7], v[38:39], v[112:113]
	v_fma_f64 v[38:39], v[40:41], s[12:13], v[14:15]
	v_add_f64 v[42:43], v[110:111], -v[118:119]
	v_fma_f64 v[16:17], v[10:11], s[16:17], v[8:9]
	v_fma_f64 v[4:5], v[10:11], s[16:17], v[4:5]
	v_fma_f64 v[10:11], v[36:37], -0.5, v[72:73]
	v_fma_f64 v[12:13], v[18:19], s[16:17], v[12:13]
	v_fma_f64 v[8:9], v[18:19], s[16:17], v[2:3]
	v_add_f64 v[2:3], v[6:7], v[120:121]
	v_add_f64 v[18:19], v[116:117], -v[112:113]
	v_fma_f64 v[6:7], v[42:43], s[14:15], v[38:39]
	v_add_f64 v[36:37], v[130:131], v[94:95]
	v_add_f64 v[38:39], v[128:129], -v[120:121]
	v_fma_f64 v[14:15], v[40:41], s[2:3], v[14:15]
	v_fma_f64 v[44:45], v[42:43], s[2:3], v[10:11]
	;; [unrolled: 1-line block ×3, first 2 shown]
	v_add_f64 v[46:47], v[112:113], -v[116:117]
	v_add_f64 v[70:71], v[120:121], -v[128:129]
	v_add_f64 v[72:73], v[56:57], v[122:123]
	v_fma_f64 v[36:37], v[36:37], -0.5, v[56:57]
	v_add_f64 v[76:77], v[124:125], -v[136:137]
	v_add_f64 v[38:39], v[18:19], v[38:39]
	v_fma_f64 v[14:15], v[42:43], s[4:5], v[14:15]
	v_fma_f64 v[42:43], v[40:41], s[14:15], v[44:45]
	;; [unrolled: 1-line block ×3, first 2 shown]
	v_add_f64 v[40:41], v[122:123], v[134:135]
	v_add_f64 v[44:45], v[46:47], v[70:71]
	;; [unrolled: 1-line block ×3, first 2 shown]
	v_fma_f64 v[70:71], v[76:77], s[2:3], v[36:37]
	v_add_f64 v[72:73], v[132:133], -v[96:97]
	v_fma_f64 v[18:19], v[38:39], s[16:17], v[6:7]
	v_fma_f64 v[6:7], v[38:39], s[16:17], v[14:15]
	;; [unrolled: 1-line block ×3, first 2 shown]
	v_fma_f64 v[38:39], v[40:41], -0.5, v[56:57]
	v_fma_f64 v[14:15], v[44:45], s[16:17], v[42:43]
	v_fma_f64 v[10:11], v[44:45], s[16:17], v[10:11]
	v_add_f64 v[40:41], v[46:47], v[94:95]
	v_fma_f64 v[42:43], v[72:73], s[4:5], v[70:71]
	v_add_f64 v[44:45], v[122:123], -v[130:131]
	v_add_f64 v[46:47], v[132:133], v[96:97]
	v_add_f64 v[56:57], v[134:135], -v[94:95]
	v_fma_f64 v[70:71], v[72:73], s[12:13], v[38:39]
	v_fma_f64 v[38:39], v[72:73], s[2:3], v[38:39]
	v_add_f64 v[78:79], v[130:131], -v[122:123]
	v_add_f64 v[80:81], v[94:95], -v[134:135]
	v_add_f64 v[82:83], v[58:59], v[124:125]
	v_add_f64 v[84:85], v[122:123], -v[134:135]
	v_fma_f64 v[46:47], v[46:47], -0.5, v[58:59]
	v_add_f64 v[44:45], v[44:45], v[56:57]
	v_fma_f64 v[70:71], v[76:77], s[4:5], v[70:71]
	v_fma_f64 v[38:39], v[76:77], s[14:15], v[38:39]
	v_add_f64 v[76:77], v[124:125], v[136:137]
	v_fma_f64 v[56:57], v[72:73], s[14:15], v[36:37]
	v_add_f64 v[72:73], v[78:79], v[80:81]
	v_add_f64 v[78:79], v[82:83], v[132:133]
	v_fma_f64 v[80:81], v[84:85], s[12:13], v[46:47]
	v_add_f64 v[82:83], v[130:131], -v[94:95]
	v_add_f64 v[36:37], v[40:41], v[134:135]
	v_fma_f64 v[40:41], v[44:45], s[16:17], v[42:43]
	v_fma_f64 v[42:43], v[76:77], -0.5, v[58:59]
	v_fma_f64 v[44:45], v[44:45], s[16:17], v[56:57]
	v_fma_f64 v[56:57], v[72:73], s[16:17], v[70:71]
	;; [unrolled: 1-line block ×3, first 2 shown]
	v_add_f64 v[38:39], v[78:79], v[96:97]
	v_fma_f64 v[58:59], v[82:83], s[14:15], v[80:81]
	v_add_f64 v[72:73], v[124:125], -v[132:133]
	v_add_f64 v[76:77], v[140:141], v[98:99]
	v_add_f64 v[78:79], v[136:137], -v[96:97]
	v_fma_f64 v[80:81], v[82:83], s[2:3], v[42:43]
	v_add_f64 v[86:87], v[132:133], -v[124:125]
	v_add_f64 v[88:89], v[96:97], -v[136:137]
	v_fma_f64 v[46:47], v[84:85], s[2:3], v[46:47]
	v_fma_f64 v[42:43], v[82:83], s[12:13], v[42:43]
	v_add_f64 v[90:91], v[106:107], v[138:139]
	v_fma_f64 v[76:77], v[76:77], -0.5, v[106:107]
	v_add_f64 v[92:93], v[142:143], -v[144:145]
	v_add_f64 v[72:73], v[72:73], v[78:79]
	v_fma_f64 v[78:79], v[84:85], s[14:15], v[80:81]
	v_add_f64 v[80:81], v[86:87], v[88:89]
	v_add_f64 v[86:87], v[138:139], v[74:75]
	v_fma_f64 v[46:47], v[82:83], s[4:5], v[46:47]
	v_fma_f64 v[82:83], v[84:85], s[4:5], v[42:43]
	v_add_f64 v[84:85], v[90:91], v[140:141]
	v_fma_f64 v[88:89], v[92:93], s[2:3], v[76:77]
	v_add_f64 v[90:91], v[146:147], -v[100:101]
	v_fma_f64 v[42:43], v[72:73], s[16:17], v[58:59]
	v_fma_f64 v[58:59], v[80:81], s[16:17], v[78:79]
	v_fma_f64 v[78:79], v[86:87], -0.5, v[106:107]
	v_add_f64 v[86:87], v[108:109], v[142:143]
	v_fma_f64 v[46:47], v[72:73], s[16:17], v[46:47]
	v_fma_f64 v[72:73], v[80:81], s[16:17], v[82:83]
	v_add_f64 v[80:81], v[84:85], v[98:99]
	v_fma_f64 v[82:83], v[90:91], s[4:5], v[88:89]
	v_add_f64 v[84:85], v[138:139], -v[140:141]
	v_add_f64 v[88:89], v[146:147], v[100:101]
	v_add_f64 v[94:95], v[74:75], -v[98:99]
	v_fma_f64 v[76:77], v[92:93], s[12:13], v[76:77]
	v_fma_f64 v[96:97], v[90:91], s[12:13], v[78:79]
	v_add_f64 v[102:103], v[140:141], -v[138:139]
	v_add_f64 v[104:105], v[98:99], -v[74:75]
	v_fma_f64 v[78:79], v[90:91], s[2:3], v[78:79]
	v_add_f64 v[86:87], v[86:87], v[146:147]
	v_fma_f64 v[88:89], v[88:89], -0.5, v[108:109]
	v_add_f64 v[106:107], v[138:139], -v[74:75]
	v_add_f64 v[84:85], v[84:85], v[94:95]
	v_fma_f64 v[76:77], v[90:91], s[14:15], v[76:77]
	v_fma_f64 v[90:91], v[92:93], s[4:5], v[96:97]
	v_add_f64 v[94:95], v[102:103], v[104:105]
	v_fma_f64 v[92:93], v[92:93], s[14:15], v[78:79]
	v_add_f64 v[96:97], v[86:87], v[100:101]
	v_add_f64 v[102:103], v[142:143], v[144:145]
	v_fma_f64 v[104:105], v[106:107], s[12:13], v[88:89]
	v_add_f64 v[98:99], v[140:141], -v[98:99]
	v_add_f64 v[74:75], v[80:81], v[74:75]
	v_fma_f64 v[78:79], v[84:85], s[16:17], v[82:83]
	v_fma_f64 v[82:83], v[84:85], s[16:17], v[76:77]
	;; [unrolled: 1-line block ×4, first 2 shown]
	v_fma_f64 v[80:81], v[102:103], -0.5, v[108:109]
	v_add_f64 v[76:77], v[96:97], v[144:145]
	v_add_f64 v[92:93], v[142:143], -v[146:147]
	v_add_f64 v[94:95], v[144:145], -v[100:101]
	v_add_f64 v[96:97], v[52:53], v[148:149]
	v_fma_f64 v[84:85], v[98:99], s[14:15], v[104:105]
	v_fma_f64 v[88:89], v[106:107], s[2:3], v[88:89]
	v_add_f64 v[102:103], v[150:151], v[152:153]
	v_fma_f64 v[104:105], v[98:99], s[2:3], v[80:81]
	v_add_f64 v[108:109], v[146:147], -v[142:143]
	v_add_f64 v[100:101], v[100:101], -v[144:145]
	v_fma_f64 v[80:81], v[98:99], s[12:13], v[80:81]
	v_add_f64 v[92:93], v[92:93], v[94:95]
	v_add_f64 v[94:95], v[96:97], v[150:151]
	v_fma_f64 v[88:89], v[98:99], s[4:5], v[88:89]
	v_fma_f64 v[96:97], v[102:103], -0.5, v[52:53]
	v_add_f64 v[102:103], v[62:63], -v[68:69]
	v_fma_f64 v[98:99], v[106:107], s[14:15], v[104:105]
	v_add_f64 v[100:101], v[108:109], v[100:101]
	v_fma_f64 v[104:105], v[106:107], s[4:5], v[80:81]
	v_add_f64 v[106:107], v[148:149], v[154:155]
	v_add_f64 v[94:95], v[94:95], v[152:153]
	v_fma_f64 v[80:81], v[92:93], s[16:17], v[84:85]
	v_fma_f64 v[84:85], v[92:93], s[16:17], v[88:89]
	;; [unrolled: 1-line block ×3, first 2 shown]
	v_add_f64 v[110:111], v[64:65], -v[66:67]
	v_fma_f64 v[88:89], v[100:101], s[16:17], v[98:99]
	v_fma_f64 v[92:93], v[100:101], s[16:17], v[104:105]
	v_fma_f64 v[98:99], v[106:107], -0.5, v[52:53]
	v_add_f64 v[52:53], v[94:95], v[154:155]
	v_add_f64 v[94:95], v[148:149], -v[150:151]
	v_add_f64 v[100:101], v[154:155], -v[152:153]
	v_fma_f64 v[96:97], v[102:103], s[12:13], v[96:97]
	v_fma_f64 v[104:105], v[110:111], s[4:5], v[108:109]
	v_add_f64 v[106:107], v[54:55], v[62:63]
	v_add_f64 v[108:109], v[64:65], v[66:67]
	v_fma_f64 v[112:113], v[110:111], s[12:13], v[98:99]
	v_add_f64 v[114:115], v[150:151], -v[148:149]
	v_add_f64 v[116:117], v[152:153], -v[154:155]
	v_add_f64 v[100:101], v[94:95], v[100:101]
	v_fma_f64 v[96:97], v[110:111], s[14:15], v[96:97]
	v_fma_f64 v[110:111], v[110:111], s[2:3], v[98:99]
	v_add_f64 v[106:107], v[106:107], v[64:65]
	v_fma_f64 v[108:109], v[108:109], -0.5, v[54:55]
	v_add_f64 v[118:119], v[148:149], -v[154:155]
	v_fma_f64 v[112:113], v[102:103], s[4:5], v[112:113]
	v_add_f64 v[114:115], v[114:115], v[116:117]
	v_fma_f64 v[94:95], v[100:101], s[16:17], v[104:105]
	v_fma_f64 v[98:99], v[100:101], s[16:17], v[96:97]
	;; [unrolled: 1-line block ×3, first 2 shown]
	v_add_f64 v[104:105], v[62:63], v[68:69]
	v_add_f64 v[100:101], v[106:107], v[66:67]
	v_fma_f64 v[110:111], v[118:119], s[12:13], v[108:109]
	v_add_f64 v[116:117], v[150:151], -v[152:153]
	v_fma_f64 v[102:103], v[114:115], s[16:17], v[112:113]
	v_add_f64 v[112:113], v[28:29], v[30:31]
	v_add_f64 v[120:121], v[62:63], -v[64:65]
	v_fma_f64 v[106:107], v[114:115], s[16:17], v[96:97]
	v_fma_f64 v[96:97], v[104:105], -0.5, v[54:55]
	v_add_f64 v[122:123], v[68:69], -v[66:67]
	v_add_f64 v[54:55], v[100:101], v[68:69]
	v_fma_f64 v[100:101], v[116:117], s[14:15], v[110:111]
	v_add_f64 v[104:105], v[48:49], v[26:27]
	v_fma_f64 v[110:111], v[112:113], -0.5, v[48:49]
	v_add_f64 v[112:113], v[22:23], -v[32:33]
	v_fma_f64 v[108:109], v[118:119], s[2:3], v[108:109]
	v_add_f64 v[62:63], v[64:65], -v[62:63]
	v_add_f64 v[64:65], v[66:67], -v[68:69]
	v_fma_f64 v[66:67], v[116:117], s[12:13], v[96:97]
	v_add_f64 v[114:115], v[120:121], v[122:123]
	v_fma_f64 v[120:121], v[116:117], s[2:3], v[96:97]
	v_add_f64 v[68:69], v[104:105], v[28:29]
	v_fma_f64 v[96:97], v[112:113], s[2:3], v[110:111]
	v_add_f64 v[122:123], v[24:25], -v[20:21]
	v_add_f64 v[104:105], v[26:27], -v[28:29]
	;; [unrolled: 1-line block ×3, first 2 shown]
	v_fma_f64 v[108:109], v[116:117], s[4:5], v[108:109]
	v_add_f64 v[116:117], v[26:27], v[34:35]
	v_add_f64 v[62:63], v[62:63], v[64:65]
	v_fma_f64 v[64:65], v[118:119], s[4:5], v[66:67]
	v_fma_f64 v[120:121], v[118:119], s[14:15], v[120:121]
	v_add_f64 v[66:67], v[68:69], v[30:31]
	v_fma_f64 v[68:69], v[122:123], s[4:5], v[96:97]
	v_add_f64 v[118:119], v[104:105], v[124:125]
	v_fma_f64 v[96:97], v[114:115], s[16:17], v[100:101]
	v_fma_f64 v[116:117], v[116:117], -0.5, v[48:49]
	v_fma_f64 v[100:101], v[114:115], s[16:17], v[108:109]
	v_fma_f64 v[108:109], v[62:63], s[16:17], v[64:65]
	v_add_f64 v[64:65], v[24:25], v[20:21]
	v_add_f64 v[114:115], v[22:23], v[32:33]
	v_fma_f64 v[104:105], v[62:63], s[16:17], v[120:121]
	v_add_f64 v[48:49], v[66:67], v[34:35]
	v_fma_f64 v[62:63], v[118:119], s[16:17], v[68:69]
	v_fma_f64 v[66:67], v[112:113], s[12:13], v[110:111]
	;; [unrolled: 1-line block ×3, first 2 shown]
	v_add_f64 v[110:111], v[28:29], -v[26:27]
	v_add_f64 v[120:121], v[30:31], -v[34:35]
	v_add_f64 v[124:125], v[50:51], v[22:23]
	v_fma_f64 v[64:65], v[64:65], -0.5, v[50:51]
	v_add_f64 v[26:27], v[26:27], -v[34:35]
	v_add_f64 v[28:29], v[28:29], -v[30:31]
	v_fma_f64 v[30:31], v[114:115], -0.5, v[50:51]
	v_fma_f64 v[34:35], v[122:123], s[14:15], v[66:67]
	v_fma_f64 v[66:67], v[112:113], s[4:5], v[68:69]
	v_add_f64 v[50:51], v[110:111], v[120:121]
	v_fma_f64 v[68:69], v[122:123], s[2:3], v[116:117]
	v_add_f64 v[110:111], v[124:125], v[24:25]
	v_fma_f64 v[114:115], v[26:27], s[12:13], v[64:65]
	v_add_f64 v[116:117], v[22:23], -v[24:25]
	v_add_f64 v[120:121], v[32:33], -v[20:21]
	v_fma_f64 v[64:65], v[26:27], s[2:3], v[64:65]
	v_fma_f64 v[122:123], v[28:29], s[2:3], v[30:31]
	v_add_f64 v[22:23], v[24:25], -v[22:23]
	v_add_f64 v[24:25], v[20:21], -v[32:33]
	v_fma_f64 v[30:31], v[28:29], s[12:13], v[30:31]
	v_add_f64 v[2:3], v[2:3], v[128:129]
	v_fma_f64 v[68:69], v[112:113], s[14:15], v[68:69]
	v_add_f64 v[110:111], v[110:111], v[20:21]
	v_fma_f64 v[112:113], v[28:29], s[14:15], v[114:115]
	v_add_f64 v[114:115], v[116:117], v[120:121]
	v_fma_f64 v[116:117], v[28:29], s[4:5], v[64:65]
	v_fma_f64 v[120:121], v[26:27], s[14:15], v[122:123]
	v_add_f64 v[122:123], v[22:23], v[24:25]
	v_fma_f64 v[30:31], v[26:27], s[4:5], v[30:31]
	v_add_f64 v[38:39], v[38:39], v[136:137]
	v_fma_f64 v[20:21], v[118:119], s[16:17], v[34:35]
	v_fma_f64 v[24:25], v[50:51], s[16:17], v[66:67]
	;; [unrolled: 1-line block ×3, first 2 shown]
	v_add_f64 v[50:51], v[110:111], v[32:33]
	v_fma_f64 v[64:65], v[114:115], s[16:17], v[112:113]
	v_fma_f64 v[22:23], v[114:115], s[16:17], v[116:117]
	;; [unrolled: 1-line block ×4, first 2 shown]
	ds_write_b128 v184, v[0:3]
	ds_write_b128 v184, v[16:19] offset:4480
	ds_write_b128 v184, v[12:15] offset:8960
	ds_write_b128 v184, v[8:11] offset:13440
	ds_write_b128 v184, v[4:7] offset:17920
	ds_write_b128 v184, v[36:39] offset:896
	ds_write_b128 v184, v[40:43] offset:5376
	ds_write_b128 v184, v[56:59] offset:9856
	ds_write_b128 v184, v[70:73] offset:14336
	ds_write_b128 v184, v[44:47] offset:18816
	ds_write_b128 v184, v[74:77] offset:1792
	ds_write_b128 v184, v[78:81] offset:6272
	ds_write_b128 v184, v[86:89] offset:10752
	ds_write_b128 v184, v[90:93] offset:15232
	ds_write_b128 v184, v[82:85] offset:19712
	ds_write_b128 v184, v[52:55] offset:2688
	ds_write_b128 v184, v[94:97] offset:7168
	ds_write_b128 v184, v[102:105] offset:11648
	ds_write_b128 v184, v[106:109] offset:16128
	ds_write_b128 v184, v[98:101] offset:20608
	ds_write_b128 v184, v[48:51] offset:3584
	ds_write_b128 v184, v[62:65] offset:8064
	ds_write_b128 v184, v[24:27] offset:12544
	ds_write_b128 v184, v[28:31] offset:17024
	ds_write_b128 v184, v[20:23] offset:21504
	s_waitcnt lgkmcnt(0)
	; wave barrier
	s_waitcnt lgkmcnt(0)
	ds_read_b128 v[0:3], v184
	ds_read_b128 v[4:7], v184 offset:896
	buffer_load_dword v14, off, s[36:39], 0 offset:396 ; 4-byte Folded Reload
	buffer_load_dword v15, off, s[36:39], 0 offset:400 ; 4-byte Folded Reload
	;; [unrolled: 1-line block ×4, first 2 shown]
	v_mov_b32_e32 v8, v61
	v_mov_b32_e32 v24, s7
	s_mul_hi_u32 s7, s8, 0xfffffd7c
	s_sub_i32 s7, s7, s8
	s_waitcnt vmcnt(0) lgkmcnt(1)
	v_mul_f64 v[9:10], v[16:17], v[2:3]
	v_mad_u64_u32 v[11:12], s[2:3], s11, v156, v[8:9]
	v_mul_f64 v[12:13], v[16:17], v[0:1]
	v_fma_f64 v[0:1], v[14:15], v[0:1], v[9:10]
	buffer_load_dword v9, off, s[36:39], 0 offset:56 ; 4-byte Folded Reload
	v_mov_b32_e32 v61, v11
	v_fma_f64 v[2:3], v[14:15], v[2:3], -v[12:13]
	s_waitcnt vmcnt(0)
	v_mad_u64_u32 v[20:21], s[2:3], s8, v9, 0
	s_mov_b32 s2, 0xe434a9b1
	s_mov_b32 s3, 0x3f4767dc
	v_mov_b32_e32 v8, v21
	v_mad_u64_u32 v[16:17], s[4:5], s9, v9, v[8:9]
	ds_read_b128 v[8:11], v184 offset:11200
	v_mul_f64 v[12:13], v[0:1], s[2:3]
	v_mov_b32_e32 v21, v16
	ds_read_b128 v[16:19], v184 offset:12096
	buffer_load_dword v25, off, s[36:39], 0 offset:380 ; 4-byte Folded Reload
	buffer_load_dword v26, off, s[36:39], 0 offset:384 ; 4-byte Folded Reload
	;; [unrolled: 1-line block ×4, first 2 shown]
	v_mul_f64 v[14:15], v[2:3], s[2:3]
	v_lshlrev_b64 v[2:3], 4, v[60:61]
	s_mul_i32 s4, s9, 0x2bc
	v_add_co_u32_e32 v2, vcc, s6, v2
	v_addc_co_u32_e32 v3, vcc, v24, v3, vcc
	s_mul_hi_u32 s5, s8, 0x2bc
	s_add_i32 s5, s5, s4
	s_mul_i32 s4, s8, 0x2bc
	s_lshl_b64 s[4:5], s[4:5], 4
	s_mul_i32 s6, s9, 0xfffffd7c
	s_add_i32 s7, s7, s6
	s_mul_i32 s6, s8, 0xfffffd7c
	s_lshl_b64 s[6:7], s[6:7], 4
	s_waitcnt vmcnt(0) lgkmcnt(1)
	v_mul_f64 v[0:1], v[27:28], v[10:11]
	v_mul_f64 v[22:23], v[27:28], v[8:9]
	v_fma_f64 v[0:1], v[25:26], v[8:9], v[0:1]
	v_lshlrev_b64 v[8:9], 4, v[20:21]
	v_fma_f64 v[10:11], v[25:26], v[10:11], -v[22:23]
	v_add_co_u32_e32 v20, vcc, v2, v8
	v_addc_co_u32_e32 v21, vcc, v3, v9, vcc
	global_store_dwordx4 v[20:21], v[12:15], off
	buffer_load_dword v22, off, s[36:39], 0 offset:268 ; 4-byte Folded Reload
	buffer_load_dword v23, off, s[36:39], 0 offset:272 ; 4-byte Folded Reload
	;; [unrolled: 1-line block ×4, first 2 shown]
	v_mul_f64 v[8:9], v[0:1], s[2:3]
	v_mul_f64 v[10:11], v[10:11], s[2:3]
	v_add_co_u32_e32 v20, vcc, s4, v20
	s_waitcnt vmcnt(0)
	v_mul_f64 v[0:1], v[24:25], v[6:7]
	v_mul_f64 v[12:13], v[24:25], v[4:5]
	v_fma_f64 v[4:5], v[22:23], v[4:5], v[0:1]
	v_mov_b32_e32 v1, s5
	v_addc_co_u32_e32 v21, vcc, v21, v1, vcc
	global_store_dwordx4 v[20:21], v[8:11], off
	v_fma_f64 v[6:7], v[22:23], v[6:7], -v[12:13]
	buffer_load_dword v22, off, s[36:39], 0 offset:220 ; 4-byte Folded Reload
	buffer_load_dword v23, off, s[36:39], 0 offset:224 ; 4-byte Folded Reload
	;; [unrolled: 1-line block ×4, first 2 shown]
	ds_read_b128 v[8:11], v184 offset:1792
	v_mul_f64 v[4:5], v[4:5], s[2:3]
	v_mov_b32_e32 v0, s7
	v_add_co_u32_e32 v20, vcc, s6, v20
	v_addc_co_u32_e32 v21, vcc, v21, v0, vcc
	v_mul_f64 v[6:7], v[6:7], s[2:3]
	s_waitcnt vmcnt(0) lgkmcnt(1)
	v_mul_f64 v[12:13], v[24:25], v[18:19]
	v_mul_f64 v[14:15], v[24:25], v[16:17]
	v_fma_f64 v[16:17], v[22:23], v[16:17], v[12:13]
	v_fma_f64 v[22:23], v[22:23], v[18:19], -v[14:15]
	ds_read_b128 v[12:15], v184 offset:2688
	buffer_load_dword v28, off, s[36:39], 0 offset:332 ; 4-byte Folded Reload
	buffer_load_dword v29, off, s[36:39], 0 offset:336 ; 4-byte Folded Reload
	;; [unrolled: 1-line block ×4, first 2 shown]
	s_waitcnt vmcnt(0) lgkmcnt(1)
	v_mul_f64 v[24:25], v[30:31], v[10:11]
	v_mul_f64 v[26:27], v[30:31], v[8:9]
	global_store_dwordx4 v[20:21], v[4:7], off
	v_add_co_u32_e32 v20, vcc, s4, v20
	v_mul_f64 v[4:5], v[16:17], s[2:3]
	ds_read_b128 v[16:19], v184 offset:12992
	v_mul_f64 v[6:7], v[22:23], s[2:3]
	v_fma_f64 v[22:23], v[28:29], v[8:9], v[24:25]
	v_fma_f64 v[24:25], v[28:29], v[10:11], -v[26:27]
	ds_read_b128 v[8:11], v184 offset:13888
	buffer_load_dword v30, off, s[36:39], 0 offset:92 ; 4-byte Folded Reload
	buffer_load_dword v31, off, s[36:39], 0 offset:96 ; 4-byte Folded Reload
	;; [unrolled: 1-line block ×4, first 2 shown]
	v_addc_co_u32_e32 v21, vcc, v21, v1, vcc
	global_store_dwordx4 v[20:21], v[4:7], off
	s_nop 0
	v_mul_f64 v[4:5], v[22:23], s[2:3]
	v_mul_f64 v[6:7], v[24:25], s[2:3]
	v_add_co_u32_e32 v20, vcc, s6, v20
	v_addc_co_u32_e32 v21, vcc, v21, v0, vcc
	s_waitcnt vmcnt(1) lgkmcnt(1)
	v_mul_f64 v[26:27], v[32:33], v[18:19]
	v_mul_f64 v[28:29], v[32:33], v[16:17]
	v_fma_f64 v[16:17], v[30:31], v[16:17], v[26:27]
	v_fma_f64 v[18:19], v[30:31], v[18:19], -v[28:29]
	buffer_load_dword v26, off, s[36:39], 0 offset:188 ; 4-byte Folded Reload
	buffer_load_dword v27, off, s[36:39], 0 offset:192 ; 4-byte Folded Reload
	;; [unrolled: 1-line block ×4, first 2 shown]
	s_waitcnt vmcnt(0)
	v_mul_f64 v[22:23], v[28:29], v[14:15]
	v_mul_f64 v[24:25], v[28:29], v[12:13]
	global_store_dwordx4 v[20:21], v[4:7], off
	v_add_co_u32_e32 v20, vcc, s4, v20
	v_mul_f64 v[4:5], v[16:17], s[2:3]
	v_mul_f64 v[6:7], v[18:19], s[2:3]
	v_addc_co_u32_e32 v21, vcc, v21, v1, vcc
	v_fma_f64 v[12:13], v[26:27], v[12:13], v[22:23]
	v_fma_f64 v[16:17], v[26:27], v[14:15], -v[24:25]
	buffer_load_dword v24, off, s[36:39], 0 offset:140 ; 4-byte Folded Reload
	buffer_load_dword v25, off, s[36:39], 0 offset:144 ; 4-byte Folded Reload
	;; [unrolled: 1-line block ×4, first 2 shown]
	s_waitcnt vmcnt(0) lgkmcnt(0)
	v_mul_f64 v[18:19], v[26:27], v[10:11]
	v_mul_f64 v[22:23], v[26:27], v[8:9]
	global_store_dwordx4 v[20:21], v[4:7], off
	v_add_co_u32_e32 v20, vcc, s6, v20
	v_mul_f64 v[4:5], v[12:13], s[2:3]
	ds_read_b128 v[12:15], v184 offset:3584
	v_mul_f64 v[6:7], v[16:17], s[2:3]
	v_fma_f64 v[16:17], v[24:25], v[8:9], v[18:19]
	v_fma_f64 v[22:23], v[24:25], v[10:11], -v[22:23]
	ds_read_b128 v[8:11], v184 offset:4480
	buffer_load_dword v28, off, s[36:39], 0 offset:124 ; 4-byte Folded Reload
	buffer_load_dword v29, off, s[36:39], 0 offset:128 ; 4-byte Folded Reload
	;; [unrolled: 1-line block ×4, first 2 shown]
	v_addc_co_u32_e32 v21, vcc, v21, v0, vcc
	global_store_dwordx4 v[20:21], v[4:7], off
	s_nop 0
	v_mul_f64 v[4:5], v[16:17], s[2:3]
	ds_read_b128 v[16:19], v184 offset:14784
	v_mul_f64 v[6:7], v[22:23], s[2:3]
	v_add_co_u32_e32 v20, vcc, s4, v20
	v_addc_co_u32_e32 v21, vcc, v21, v1, vcc
	s_waitcnt vmcnt(1) lgkmcnt(2)
	v_mul_f64 v[24:25], v[30:31], v[14:15]
	v_mul_f64 v[26:27], v[30:31], v[12:13]
	v_fma_f64 v[22:23], v[28:29], v[12:13], v[24:25]
	v_fma_f64 v[24:25], v[28:29], v[14:15], -v[26:27]
	ds_read_b128 v[12:15], v184 offset:15680
	buffer_load_dword v30, off, s[36:39], 0 offset:364 ; 4-byte Folded Reload
	buffer_load_dword v31, off, s[36:39], 0 offset:368 ; 4-byte Folded Reload
	;; [unrolled: 1-line block ×4, first 2 shown]
	s_waitcnt vmcnt(0) lgkmcnt(1)
	v_mul_f64 v[26:27], v[32:33], v[18:19]
	v_mul_f64 v[28:29], v[32:33], v[16:17]
	global_store_dwordx4 v[20:21], v[4:7], off
	v_add_co_u32_e32 v20, vcc, s6, v20
	v_mul_f64 v[4:5], v[22:23], s[2:3]
	v_mul_f64 v[6:7], v[24:25], s[2:3]
	v_addc_co_u32_e32 v21, vcc, v21, v0, vcc
	v_fma_f64 v[16:17], v[30:31], v[16:17], v[26:27]
	v_fma_f64 v[18:19], v[30:31], v[18:19], -v[28:29]
	buffer_load_dword v26, off, s[36:39], 0 offset:412 ; 4-byte Folded Reload
	buffer_load_dword v27, off, s[36:39], 0 offset:416 ; 4-byte Folded Reload
	;; [unrolled: 1-line block ×4, first 2 shown]
	s_waitcnt vmcnt(0)
	v_mul_f64 v[22:23], v[28:29], v[10:11]
	v_mul_f64 v[24:25], v[28:29], v[8:9]
	global_store_dwordx4 v[20:21], v[4:7], off
	v_add_co_u32_e32 v20, vcc, s4, v20
	v_mul_f64 v[4:5], v[16:17], s[2:3]
	v_mul_f64 v[6:7], v[18:19], s[2:3]
	v_addc_co_u32_e32 v21, vcc, v21, v1, vcc
	v_fma_f64 v[8:9], v[26:27], v[8:9], v[22:23]
	v_fma_f64 v[16:17], v[26:27], v[10:11], -v[24:25]
	buffer_load_dword v24, off, s[36:39], 0 offset:284 ; 4-byte Folded Reload
	buffer_load_dword v25, off, s[36:39], 0 offset:288 ; 4-byte Folded Reload
	buffer_load_dword v26, off, s[36:39], 0 offset:292 ; 4-byte Folded Reload
	buffer_load_dword v27, off, s[36:39], 0 offset:296 ; 4-byte Folded Reload
	s_waitcnt vmcnt(0) lgkmcnt(0)
	v_mul_f64 v[18:19], v[26:27], v[14:15]
	v_mul_f64 v[22:23], v[26:27], v[12:13]
	global_store_dwordx4 v[20:21], v[4:7], off
	v_add_co_u32_e32 v20, vcc, s6, v20
	v_mul_f64 v[4:5], v[8:9], s[2:3]
	ds_read_b128 v[8:11], v184 offset:5376
	v_mul_f64 v[6:7], v[16:17], s[2:3]
	v_fma_f64 v[16:17], v[24:25], v[12:13], v[18:19]
	v_fma_f64 v[22:23], v[24:25], v[14:15], -v[22:23]
	ds_read_b128 v[12:15], v184 offset:6272
	buffer_load_dword v28, off, s[36:39], 0 offset:108 ; 4-byte Folded Reload
	buffer_load_dword v29, off, s[36:39], 0 offset:112 ; 4-byte Folded Reload
	;; [unrolled: 1-line block ×4, first 2 shown]
	v_addc_co_u32_e32 v21, vcc, v21, v0, vcc
	global_store_dwordx4 v[20:21], v[4:7], off
	s_nop 0
	v_mul_f64 v[4:5], v[16:17], s[2:3]
	ds_read_b128 v[16:19], v184 offset:16576
	v_mul_f64 v[6:7], v[22:23], s[2:3]
	v_add_co_u32_e32 v20, vcc, s4, v20
	v_addc_co_u32_e32 v21, vcc, v21, v1, vcc
	s_waitcnt vmcnt(1) lgkmcnt(2)
	v_mul_f64 v[24:25], v[30:31], v[10:11]
	v_mul_f64 v[26:27], v[30:31], v[8:9]
	v_fma_f64 v[22:23], v[28:29], v[8:9], v[24:25]
	v_fma_f64 v[24:25], v[28:29], v[10:11], -v[26:27]
	ds_read_b128 v[8:11], v184 offset:17472
	buffer_load_dword v30, off, s[36:39], 0 offset:428 ; 4-byte Folded Reload
	buffer_load_dword v31, off, s[36:39], 0 offset:432 ; 4-byte Folded Reload
	;; [unrolled: 1-line block ×4, first 2 shown]
	s_waitcnt vmcnt(0) lgkmcnt(1)
	v_mul_f64 v[26:27], v[32:33], v[18:19]
	v_mul_f64 v[28:29], v[32:33], v[16:17]
	global_store_dwordx4 v[20:21], v[4:7], off
	v_add_co_u32_e32 v20, vcc, s6, v20
	v_mul_f64 v[4:5], v[22:23], s[2:3]
	v_mul_f64 v[6:7], v[24:25], s[2:3]
	v_addc_co_u32_e32 v21, vcc, v21, v0, vcc
	v_fma_f64 v[16:17], v[30:31], v[16:17], v[26:27]
	v_fma_f64 v[18:19], v[30:31], v[18:19], -v[28:29]
	buffer_load_dword v26, off, s[36:39], 0 offset:236 ; 4-byte Folded Reload
	buffer_load_dword v27, off, s[36:39], 0 offset:240 ; 4-byte Folded Reload
	;; [unrolled: 1-line block ×4, first 2 shown]
	s_waitcnt vmcnt(0)
	v_mul_f64 v[22:23], v[28:29], v[14:15]
	v_mul_f64 v[24:25], v[28:29], v[12:13]
	global_store_dwordx4 v[20:21], v[4:7], off
	v_add_co_u32_e32 v20, vcc, s4, v20
	v_mul_f64 v[4:5], v[16:17], s[2:3]
	v_mul_f64 v[6:7], v[18:19], s[2:3]
	v_addc_co_u32_e32 v21, vcc, v21, v1, vcc
	v_fma_f64 v[12:13], v[26:27], v[12:13], v[22:23]
	v_fma_f64 v[14:15], v[26:27], v[14:15], -v[24:25]
	buffer_load_dword v22, off, s[36:39], 0 offset:348 ; 4-byte Folded Reload
	buffer_load_dword v23, off, s[36:39], 0 offset:352 ; 4-byte Folded Reload
	;; [unrolled: 1-line block ×4, first 2 shown]
	s_waitcnt vmcnt(0) lgkmcnt(0)
	v_mul_f64 v[16:17], v[24:25], v[10:11]
	v_mul_f64 v[18:19], v[24:25], v[8:9]
	global_store_dwordx4 v[20:21], v[4:7], off
	s_nop 0
	v_mul_f64 v[4:5], v[12:13], s[2:3]
	v_mul_f64 v[6:7], v[14:15], s[2:3]
	v_fma_f64 v[12:13], v[22:23], v[8:9], v[16:17]
	v_fma_f64 v[14:15], v[22:23], v[10:11], -v[18:19]
	v_add_co_u32_e32 v16, vcc, s6, v20
	v_addc_co_u32_e32 v17, vcc, v21, v0, vcc
	global_store_dwordx4 v[16:17], v[4:7], off
	ds_read_b128 v[8:11], v184 offset:7168
	v_mul_f64 v[4:5], v[12:13], s[2:3]
	v_mul_f64 v[6:7], v[14:15], s[2:3]
	ds_read_b128 v[12:15], v184 offset:8064
	buffer_load_dword v28, off, s[36:39], 0 offset:252 ; 4-byte Folded Reload
	buffer_load_dword v29, off, s[36:39], 0 offset:256 ; 4-byte Folded Reload
	buffer_load_dword v30, off, s[36:39], 0 offset:260 ; 4-byte Folded Reload
	buffer_load_dword v31, off, s[36:39], 0 offset:264 ; 4-byte Folded Reload
	v_add_co_u32_e32 v24, vcc, s4, v16
	v_addc_co_u32_e32 v25, vcc, v17, v1, vcc
	buffer_load_dword v32, off, s[36:39], 0 offset:52 ; 4-byte Folded Reload
	ds_read_b128 v[16:19], v184 offset:18368
	s_waitcnt vmcnt(1) lgkmcnt(2)
	v_mul_f64 v[20:21], v[30:31], v[10:11]
	v_mul_f64 v[22:23], v[30:31], v[8:9]
	s_waitcnt vmcnt(0)
	v_mad_u64_u32 v[26:27], s[10:11], s8, v32, 0
	v_fma_f64 v[20:21], v[28:29], v[8:9], v[20:21]
	v_fma_f64 v[22:23], v[28:29], v[10:11], -v[22:23]
	ds_read_b128 v[8:11], v184 offset:19264
	buffer_load_dword v34, off, s[36:39], 0 offset:316 ; 4-byte Folded Reload
	buffer_load_dword v35, off, s[36:39], 0 offset:320 ; 4-byte Folded Reload
	buffer_load_dword v36, off, s[36:39], 0 offset:324 ; 4-byte Folded Reload
	buffer_load_dword v37, off, s[36:39], 0 offset:328 ; 4-byte Folded Reload
	s_waitcnt vmcnt(0) lgkmcnt(1)
	v_mul_f64 v[28:29], v[36:37], v[18:19]
	global_store_dwordx4 v[24:25], v[4:7], off
	v_mul_f64 v[30:31], v[36:37], v[16:17]
	v_mul_f64 v[4:5], v[20:21], s[2:3]
	v_mul_f64 v[6:7], v[22:23], s[2:3]
	v_mad_u64_u32 v[32:33], s[10:11], s9, v32, v[27:28]
	v_fma_f64 v[16:17], v[34:35], v[16:17], v[28:29]
	v_fma_f64 v[18:19], v[34:35], v[18:19], -v[30:31]
	v_mov_b32_e32 v27, v32
	v_lshlrev_b64 v[20:21], 4, v[26:27]
	buffer_load_dword v26, off, s[36:39], 0 offset:172 ; 4-byte Folded Reload
	buffer_load_dword v27, off, s[36:39], 0 offset:176 ; 4-byte Folded Reload
	;; [unrolled: 1-line block ×4, first 2 shown]
	v_add_co_u32_e32 v2, vcc, v2, v20
	v_addc_co_u32_e32 v3, vcc, v3, v21, vcc
	global_store_dwordx4 v[2:3], v[4:7], off
	v_mul_f64 v[2:3], v[16:17], s[2:3]
	v_mov_b32_e32 v16, 0x380
	v_mul_f64 v[4:5], v[18:19], s[2:3]
	v_mad_u64_u32 v[16:17], s[10:11], s8, v16, v[24:25]
	s_mul_i32 s8, s9, 0x380
	v_add_u32_e32 v17, s8, v17
	s_waitcnt vmcnt(1)
	v_mul_f64 v[22:23], v[28:29], v[14:15]
	v_mul_f64 v[20:21], v[28:29], v[12:13]
	v_fma_f64 v[6:7], v[26:27], v[12:13], v[22:23]
	v_fma_f64 v[18:19], v[26:27], v[14:15], -v[20:21]
	buffer_load_dword v24, off, s[36:39], 0 offset:156 ; 4-byte Folded Reload
	buffer_load_dword v25, off, s[36:39], 0 offset:160 ; 4-byte Folded Reload
	;; [unrolled: 1-line block ×4, first 2 shown]
	ds_read_b128 v[12:15], v184 offset:8960
	global_store_dwordx4 v[16:17], v[2:5], off
	s_waitcnt vmcnt(1) lgkmcnt(1)
	v_mul_f64 v[20:21], v[26:27], v[10:11]
	v_mul_f64 v[22:23], v[26:27], v[8:9]
	;; [unrolled: 1-line block ×4, first 2 shown]
	v_fma_f64 v[18:19], v[24:25], v[8:9], v[20:21]
	ds_read_b128 v[6:9], v184 offset:9856
	buffer_load_dword v26, off, s[36:39], 0 offset:300 ; 4-byte Folded Reload
	buffer_load_dword v27, off, s[36:39], 0 offset:304 ; 4-byte Folded Reload
	;; [unrolled: 1-line block ×4, first 2 shown]
	v_fma_f64 v[10:11], v[24:25], v[10:11], -v[22:23]
	v_add_co_u32_e32 v24, vcc, s6, v16
	v_addc_co_u32_e32 v25, vcc, v17, v0, vcc
	global_store_dwordx4 v[24:25], v[2:5], off
	v_add_co_u32_e32 v24, vcc, s4, v24
	v_mul_f64 v[2:3], v[18:19], s[2:3]
	ds_read_b128 v[16:19], v184 offset:20160
	v_mul_f64 v[4:5], v[10:11], s[2:3]
	v_addc_co_u32_e32 v25, vcc, v25, v1, vcc
	s_waitcnt vmcnt(1) lgkmcnt(2)
	v_mul_f64 v[20:21], v[28:29], v[14:15]
	v_mul_f64 v[22:23], v[28:29], v[12:13]
	v_fma_f64 v[20:21], v[26:27], v[12:13], v[20:21]
	ds_read_b128 v[10:13], v184 offset:21056
	buffer_load_dword v28, off, s[36:39], 0 offset:60 ; 4-byte Folded Reload
	buffer_load_dword v29, off, s[36:39], 0 offset:64 ; 4-byte Folded Reload
	;; [unrolled: 1-line block ×4, first 2 shown]
	v_fma_f64 v[14:15], v[26:27], v[14:15], -v[22:23]
	global_store_dwordx4 v[24:25], v[2:5], off
	v_add_co_u32_e32 v24, vcc, s6, v24
	v_addc_co_u32_e32 v25, vcc, v25, v0, vcc
	v_mul_f64 v[2:3], v[20:21], s[2:3]
	v_mul_f64 v[4:5], v[14:15], s[2:3]
	s_waitcnt vmcnt(1) lgkmcnt(1)
	v_mul_f64 v[22:23], v[30:31], v[18:19]
	v_mul_f64 v[26:27], v[30:31], v[16:17]
	v_fma_f64 v[14:15], v[28:29], v[16:17], v[22:23]
	v_fma_f64 v[16:17], v[28:29], v[18:19], -v[26:27]
	buffer_load_dword v28, off, s[36:39], 0 offset:76 ; 4-byte Folded Reload
	buffer_load_dword v29, off, s[36:39], 0 offset:80 ; 4-byte Folded Reload
	;; [unrolled: 1-line block ×4, first 2 shown]
	s_waitcnt vmcnt(0)
	v_mul_f64 v[18:19], v[30:31], v[8:9]
	v_mul_f64 v[20:21], v[30:31], v[6:7]
	buffer_load_dword v30, off, s[36:39], 0 offset:204 ; 4-byte Folded Reload
	buffer_load_dword v31, off, s[36:39], 0 offset:208 ; 4-byte Folded Reload
	;; [unrolled: 1-line block ×4, first 2 shown]
	v_fma_f64 v[6:7], v[28:29], v[6:7], v[18:19]
	global_store_dwordx4 v[24:25], v[2:5], off
	v_fma_f64 v[8:9], v[28:29], v[8:9], -v[20:21]
	v_mul_f64 v[2:3], v[14:15], s[2:3]
	v_mul_f64 v[4:5], v[16:17], s[2:3]
	v_add_co_u32_e32 v14, vcc, s4, v24
	v_addc_co_u32_e32 v15, vcc, v25, v1, vcc
	v_mul_f64 v[6:7], v[6:7], s[2:3]
	v_mul_f64 v[8:9], v[8:9], s[2:3]
	global_store_dwordx4 v[14:15], v[2:5], off
	s_waitcnt vmcnt(2) lgkmcnt(0)
	v_mul_f64 v[22:23], v[32:33], v[12:13]
	v_mul_f64 v[26:27], v[32:33], v[10:11]
	v_fma_f64 v[10:11], v[30:31], v[10:11], v[22:23]
	v_fma_f64 v[12:13], v[30:31], v[12:13], -v[26:27]
	v_mul_f64 v[2:3], v[10:11], s[2:3]
	v_mul_f64 v[4:5], v[12:13], s[2:3]
	v_add_co_u32_e32 v10, vcc, s6, v14
	v_addc_co_u32_e32 v11, vcc, v15, v0, vcc
	v_add_co_u32_e32 v0, vcc, s4, v10
	v_addc_co_u32_e32 v1, vcc, v11, v1, vcc
	global_store_dwordx4 v[10:11], v[6:9], off
	global_store_dwordx4 v[0:1], v[2:5], off
	s_and_b64 exec, exec, s[0:1]
	s_cbranch_execz .LBB0_39
; %bb.38:
	buffer_load_dword v16, off, s[36:39], 0 offset:36 ; 4-byte Folded Reload
	buffer_load_dword v17, off, s[36:39], 0 offset:40 ; 4-byte Folded Reload
	s_movk_i32 s0, 0x5000
	s_waitcnt vmcnt(1)
	v_add_co_u32_e32 v2, vcc, 0x2000, v16
	s_waitcnt vmcnt(0)
	v_addc_co_u32_e32 v3, vcc, 0, v17, vcc
	global_load_dwordx4 v[2:5], v[2:3], off offset:2560
	ds_read_b128 v[6:9], v184 offset:10752
	ds_read_b128 v[10:13], v184 offset:21952
	s_waitcnt vmcnt(0) lgkmcnt(1)
	v_mul_f64 v[14:15], v[8:9], v[4:5]
	v_mul_f64 v[4:5], v[6:7], v[4:5]
	v_fma_f64 v[6:7], v[6:7], v[2:3], v[14:15]
	v_fma_f64 v[4:5], v[2:3], v[8:9], -v[4:5]
	v_mov_b32_e32 v8, s7
	v_mul_f64 v[2:3], v[6:7], s[2:3]
	v_mul_f64 v[4:5], v[4:5], s[2:3]
	v_add_co_u32_e32 v6, vcc, s6, v0
	v_addc_co_u32_e32 v7, vcc, v1, v8, vcc
	v_add_co_u32_e32 v0, vcc, s0, v16
	v_addc_co_u32_e32 v1, vcc, 0, v17, vcc
	global_store_dwordx4 v[6:7], v[2:5], off
	global_load_dwordx4 v[0:3], v[0:1], off offset:1472
	s_waitcnt vmcnt(0) lgkmcnt(0)
	v_mul_f64 v[4:5], v[12:13], v[2:3]
	v_mul_f64 v[2:3], v[10:11], v[2:3]
	v_fma_f64 v[4:5], v[10:11], v[0:1], v[4:5]
	v_fma_f64 v[2:3], v[0:1], v[12:13], -v[2:3]
	v_mul_f64 v[0:1], v[4:5], s[2:3]
	v_mul_f64 v[2:3], v[2:3], s[2:3]
	v_mov_b32_e32 v5, s5
	v_add_co_u32_e32 v4, vcc, s4, v6
	v_addc_co_u32_e32 v5, vcc, v7, v5, vcc
	global_store_dwordx4 v[4:5], v[0:3], off
.LBB0_39:
	s_endpgm
	.section	.rodata,"a",@progbits
	.p2align	6, 0x0
	.amdhsa_kernel bluestein_single_fwd_len1400_dim1_dp_op_CI_CI
		.amdhsa_group_segment_fixed_size 22400
		.amdhsa_private_segment_fixed_size 924
		.amdhsa_kernarg_size 104
		.amdhsa_user_sgpr_count 6
		.amdhsa_user_sgpr_private_segment_buffer 1
		.amdhsa_user_sgpr_dispatch_ptr 0
		.amdhsa_user_sgpr_queue_ptr 0
		.amdhsa_user_sgpr_kernarg_segment_ptr 1
		.amdhsa_user_sgpr_dispatch_id 0
		.amdhsa_user_sgpr_flat_scratch_init 0
		.amdhsa_user_sgpr_private_segment_size 0
		.amdhsa_uses_dynamic_stack 0
		.amdhsa_system_sgpr_private_segment_wavefront_offset 1
		.amdhsa_system_sgpr_workgroup_id_x 1
		.amdhsa_system_sgpr_workgroup_id_y 0
		.amdhsa_system_sgpr_workgroup_id_z 0
		.amdhsa_system_sgpr_workgroup_info 0
		.amdhsa_system_vgpr_workitem_id 0
		.amdhsa_next_free_vgpr 256
		.amdhsa_next_free_sgpr 40
		.amdhsa_reserve_vcc 1
		.amdhsa_reserve_flat_scratch 0
		.amdhsa_float_round_mode_32 0
		.amdhsa_float_round_mode_16_64 0
		.amdhsa_float_denorm_mode_32 3
		.amdhsa_float_denorm_mode_16_64 3
		.amdhsa_dx10_clamp 1
		.amdhsa_ieee_mode 1
		.amdhsa_fp16_overflow 0
		.amdhsa_exception_fp_ieee_invalid_op 0
		.amdhsa_exception_fp_denorm_src 0
		.amdhsa_exception_fp_ieee_div_zero 0
		.amdhsa_exception_fp_ieee_overflow 0
		.amdhsa_exception_fp_ieee_underflow 0
		.amdhsa_exception_fp_ieee_inexact 0
		.amdhsa_exception_int_div_zero 0
	.end_amdhsa_kernel
	.text
.Lfunc_end0:
	.size	bluestein_single_fwd_len1400_dim1_dp_op_CI_CI, .Lfunc_end0-bluestein_single_fwd_len1400_dim1_dp_op_CI_CI
                                        ; -- End function
	.section	.AMDGPU.csdata,"",@progbits
; Kernel info:
; codeLenInByte = 40568
; NumSgprs: 44
; NumVgprs: 256
; ScratchSize: 924
; MemoryBound: 0
; FloatMode: 240
; IeeeMode: 1
; LDSByteSize: 22400 bytes/workgroup (compile time only)
; SGPRBlocks: 5
; VGPRBlocks: 63
; NumSGPRsForWavesPerEU: 44
; NumVGPRsForWavesPerEU: 256
; Occupancy: 1
; WaveLimiterHint : 1
; COMPUTE_PGM_RSRC2:SCRATCH_EN: 1
; COMPUTE_PGM_RSRC2:USER_SGPR: 6
; COMPUTE_PGM_RSRC2:TRAP_HANDLER: 0
; COMPUTE_PGM_RSRC2:TGID_X_EN: 1
; COMPUTE_PGM_RSRC2:TGID_Y_EN: 0
; COMPUTE_PGM_RSRC2:TGID_Z_EN: 0
; COMPUTE_PGM_RSRC2:TIDIG_COMP_CNT: 0
	.type	__hip_cuid_8a690b26f2328f0c,@object ; @__hip_cuid_8a690b26f2328f0c
	.section	.bss,"aw",@nobits
	.globl	__hip_cuid_8a690b26f2328f0c
__hip_cuid_8a690b26f2328f0c:
	.byte	0                               ; 0x0
	.size	__hip_cuid_8a690b26f2328f0c, 1

	.ident	"AMD clang version 19.0.0git (https://github.com/RadeonOpenCompute/llvm-project roc-6.4.0 25133 c7fe45cf4b819c5991fe208aaa96edf142730f1d)"
	.section	".note.GNU-stack","",@progbits
	.addrsig
	.addrsig_sym __hip_cuid_8a690b26f2328f0c
	.amdgpu_metadata
---
amdhsa.kernels:
  - .args:
      - .actual_access:  read_only
        .address_space:  global
        .offset:         0
        .size:           8
        .value_kind:     global_buffer
      - .actual_access:  read_only
        .address_space:  global
        .offset:         8
        .size:           8
        .value_kind:     global_buffer
      - .actual_access:  read_only
        .address_space:  global
        .offset:         16
        .size:           8
        .value_kind:     global_buffer
      - .actual_access:  read_only
        .address_space:  global
        .offset:         24
        .size:           8
        .value_kind:     global_buffer
      - .actual_access:  read_only
        .address_space:  global
        .offset:         32
        .size:           8
        .value_kind:     global_buffer
      - .offset:         40
        .size:           8
        .value_kind:     by_value
      - .address_space:  global
        .offset:         48
        .size:           8
        .value_kind:     global_buffer
      - .address_space:  global
        .offset:         56
        .size:           8
        .value_kind:     global_buffer
      - .address_space:  global
        .offset:         64
        .size:           8
        .value_kind:     global_buffer
      - .address_space:  global
        .offset:         72
        .size:           8
        .value_kind:     global_buffer
      - .offset:         80
        .size:           4
        .value_kind:     by_value
      - .address_space:  global
        .offset:         88
        .size:           8
        .value_kind:     global_buffer
      - .address_space:  global
        .offset:         96
        .size:           8
        .value_kind:     global_buffer
    .group_segment_fixed_size: 22400
    .kernarg_segment_align: 8
    .kernarg_segment_size: 104
    .language:       OpenCL C
    .language_version:
      - 2
      - 0
    .max_flat_workgroup_size: 56
    .name:           bluestein_single_fwd_len1400_dim1_dp_op_CI_CI
    .private_segment_fixed_size: 924
    .sgpr_count:     44
    .sgpr_spill_count: 0
    .symbol:         bluestein_single_fwd_len1400_dim1_dp_op_CI_CI.kd
    .uniform_work_group_size: 1
    .uses_dynamic_stack: false
    .vgpr_count:     256
    .vgpr_spill_count: 238
    .wavefront_size: 64
amdhsa.target:   amdgcn-amd-amdhsa--gfx906
amdhsa.version:
  - 1
  - 2
...

	.end_amdgpu_metadata
